;; amdgpu-corpus repo=ROCm/rocFFT kind=compiled arch=gfx1201 opt=O3
	.text
	.amdgcn_target "amdgcn-amd-amdhsa--gfx1201"
	.amdhsa_code_object_version 6
	.protected	fft_rtc_fwd_len1950_factors_13_5_10_3_wgs_195_tpt_195_dp_op_CI_CI_unitstride_sbrr_C2R_dirReg ; -- Begin function fft_rtc_fwd_len1950_factors_13_5_10_3_wgs_195_tpt_195_dp_op_CI_CI_unitstride_sbrr_C2R_dirReg
	.globl	fft_rtc_fwd_len1950_factors_13_5_10_3_wgs_195_tpt_195_dp_op_CI_CI_unitstride_sbrr_C2R_dirReg
	.p2align	8
	.type	fft_rtc_fwd_len1950_factors_13_5_10_3_wgs_195_tpt_195_dp_op_CI_CI_unitstride_sbrr_C2R_dirReg,@function
fft_rtc_fwd_len1950_factors_13_5_10_3_wgs_195_tpt_195_dp_op_CI_CI_unitstride_sbrr_C2R_dirReg: ; @fft_rtc_fwd_len1950_factors_13_5_10_3_wgs_195_tpt_195_dp_op_CI_CI_unitstride_sbrr_C2R_dirReg
; %bb.0:
	s_clause 0x2
	s_load_b128 s[8:11], s[0:1], 0x0
	s_load_b128 s[4:7], s[0:1], 0x58
	;; [unrolled: 1-line block ×3, first 2 shown]
	v_mul_u32_u24_e32 v1, 0x151, v0
	v_mov_b32_e32 v3, 0
	s_delay_alu instid0(VALU_DEP_2) | instskip(NEXT) | instid1(VALU_DEP_1)
	v_lshrrev_b32_e32 v1, 16, v1
	v_add_nc_u32_e32 v5, ttmp9, v1
	v_mov_b32_e32 v1, 0
	v_mov_b32_e32 v2, 0
	;; [unrolled: 1-line block ×3, first 2 shown]
	s_wait_kmcnt 0x0
	v_cmp_lt_u64_e64 s2, s[10:11], 2
	s_delay_alu instid0(VALU_DEP_1)
	s_and_b32 vcc_lo, exec_lo, s2
	s_cbranch_vccnz .LBB0_8
; %bb.1:
	s_load_b64 s[2:3], s[0:1], 0x10
	v_mov_b32_e32 v1, 0
	v_mov_b32_e32 v2, 0
	s_add_nc_u64 s[16:17], s[14:15], 8
	s_add_nc_u64 s[18:19], s[12:13], 8
	s_mov_b64 s[20:21], 1
	s_delay_alu instid0(VALU_DEP_1)
	v_dual_mov_b32 v61, v2 :: v_dual_mov_b32 v60, v1
	s_wait_kmcnt 0x0
	s_add_nc_u64 s[22:23], s[2:3], 8
	s_mov_b32 s3, 0
.LBB0_2:                                ; =>This Inner Loop Header: Depth=1
	s_load_b64 s[24:25], s[22:23], 0x0
                                        ; implicit-def: $vgpr64_vgpr65
	s_mov_b32 s2, exec_lo
	s_wait_kmcnt 0x0
	v_or_b32_e32 v4, s25, v6
	s_delay_alu instid0(VALU_DEP_1)
	v_cmpx_ne_u64_e32 0, v[3:4]
	s_wait_alu 0xfffe
	s_xor_b32 s26, exec_lo, s2
	s_cbranch_execz .LBB0_4
; %bb.3:                                ;   in Loop: Header=BB0_2 Depth=1
	s_cvt_f32_u32 s2, s24
	s_cvt_f32_u32 s27, s25
	s_sub_nc_u64 s[30:31], 0, s[24:25]
	s_wait_alu 0xfffe
	s_delay_alu instid0(SALU_CYCLE_1) | instskip(SKIP_1) | instid1(SALU_CYCLE_2)
	s_fmamk_f32 s2, s27, 0x4f800000, s2
	s_wait_alu 0xfffe
	v_s_rcp_f32 s2, s2
	s_delay_alu instid0(TRANS32_DEP_1) | instskip(SKIP_1) | instid1(SALU_CYCLE_2)
	s_mul_f32 s2, s2, 0x5f7ffffc
	s_wait_alu 0xfffe
	s_mul_f32 s27, s2, 0x2f800000
	s_wait_alu 0xfffe
	s_delay_alu instid0(SALU_CYCLE_2) | instskip(SKIP_1) | instid1(SALU_CYCLE_2)
	s_trunc_f32 s27, s27
	s_wait_alu 0xfffe
	s_fmamk_f32 s2, s27, 0xcf800000, s2
	s_cvt_u32_f32 s29, s27
	s_wait_alu 0xfffe
	s_delay_alu instid0(SALU_CYCLE_1) | instskip(SKIP_1) | instid1(SALU_CYCLE_2)
	s_cvt_u32_f32 s28, s2
	s_wait_alu 0xfffe
	s_mul_u64 s[34:35], s[30:31], s[28:29]
	s_wait_alu 0xfffe
	s_mul_hi_u32 s37, s28, s35
	s_mul_i32 s36, s28, s35
	s_mul_hi_u32 s2, s28, s34
	s_mul_i32 s33, s29, s34
	s_wait_alu 0xfffe
	s_add_nc_u64 s[36:37], s[2:3], s[36:37]
	s_mul_hi_u32 s27, s29, s34
	s_mul_hi_u32 s38, s29, s35
	s_add_co_u32 s2, s36, s33
	s_wait_alu 0xfffe
	s_add_co_ci_u32 s2, s37, s27
	s_mul_i32 s34, s29, s35
	s_add_co_ci_u32 s35, s38, 0
	s_wait_alu 0xfffe
	s_add_nc_u64 s[34:35], s[2:3], s[34:35]
	s_wait_alu 0xfffe
	v_add_co_u32 v4, s2, s28, s34
	s_delay_alu instid0(VALU_DEP_1) | instskip(SKIP_1) | instid1(VALU_DEP_1)
	s_cmp_lg_u32 s2, 0
	s_add_co_ci_u32 s29, s29, s35
	v_readfirstlane_b32 s28, v4
	s_wait_alu 0xfffe
	s_delay_alu instid0(VALU_DEP_1)
	s_mul_u64 s[30:31], s[30:31], s[28:29]
	s_wait_alu 0xfffe
	s_mul_hi_u32 s35, s28, s31
	s_mul_i32 s34, s28, s31
	s_mul_hi_u32 s2, s28, s30
	s_mul_i32 s33, s29, s30
	s_wait_alu 0xfffe
	s_add_nc_u64 s[34:35], s[2:3], s[34:35]
	s_mul_hi_u32 s27, s29, s30
	s_mul_hi_u32 s28, s29, s31
	s_wait_alu 0xfffe
	s_add_co_u32 s2, s34, s33
	s_add_co_ci_u32 s2, s35, s27
	s_mul_i32 s30, s29, s31
	s_add_co_ci_u32 s31, s28, 0
	s_wait_alu 0xfffe
	s_add_nc_u64 s[30:31], s[2:3], s[30:31]
	s_wait_alu 0xfffe
	v_add_co_u32 v4, s2, v4, s30
	s_delay_alu instid0(VALU_DEP_1) | instskip(SKIP_1) | instid1(VALU_DEP_1)
	s_cmp_lg_u32 s2, 0
	s_add_co_ci_u32 s2, s29, s31
	v_mul_hi_u32 v13, v5, v4
	s_wait_alu 0xfffe
	v_mad_co_u64_u32 v[7:8], null, v5, s2, 0
	v_mad_co_u64_u32 v[9:10], null, v6, v4, 0
	;; [unrolled: 1-line block ×3, first 2 shown]
	s_delay_alu instid0(VALU_DEP_3) | instskip(SKIP_1) | instid1(VALU_DEP_4)
	v_add_co_u32 v4, vcc_lo, v13, v7
	s_wait_alu 0xfffd
	v_add_co_ci_u32_e32 v7, vcc_lo, 0, v8, vcc_lo
	s_delay_alu instid0(VALU_DEP_2) | instskip(SKIP_1) | instid1(VALU_DEP_2)
	v_add_co_u32 v4, vcc_lo, v4, v9
	s_wait_alu 0xfffd
	v_add_co_ci_u32_e32 v4, vcc_lo, v7, v10, vcc_lo
	s_wait_alu 0xfffd
	v_add_co_ci_u32_e32 v7, vcc_lo, 0, v12, vcc_lo
	s_delay_alu instid0(VALU_DEP_2) | instskip(SKIP_1) | instid1(VALU_DEP_2)
	v_add_co_u32 v4, vcc_lo, v4, v11
	s_wait_alu 0xfffd
	v_add_co_ci_u32_e32 v9, vcc_lo, 0, v7, vcc_lo
	s_delay_alu instid0(VALU_DEP_2) | instskip(SKIP_1) | instid1(VALU_DEP_3)
	v_mul_lo_u32 v10, s25, v4
	v_mad_co_u64_u32 v[7:8], null, s24, v4, 0
	v_mul_lo_u32 v11, s24, v9
	s_delay_alu instid0(VALU_DEP_2) | instskip(NEXT) | instid1(VALU_DEP_2)
	v_sub_co_u32 v7, vcc_lo, v5, v7
	v_add3_u32 v8, v8, v11, v10
	s_delay_alu instid0(VALU_DEP_1) | instskip(SKIP_1) | instid1(VALU_DEP_1)
	v_sub_nc_u32_e32 v10, v6, v8
	s_wait_alu 0xfffd
	v_subrev_co_ci_u32_e64 v10, s2, s25, v10, vcc_lo
	v_add_co_u32 v11, s2, v4, 2
	s_wait_alu 0xf1ff
	v_add_co_ci_u32_e64 v12, s2, 0, v9, s2
	v_sub_co_u32 v13, s2, v7, s24
	v_sub_co_ci_u32_e32 v8, vcc_lo, v6, v8, vcc_lo
	s_wait_alu 0xf1ff
	v_subrev_co_ci_u32_e64 v10, s2, 0, v10, s2
	s_delay_alu instid0(VALU_DEP_3) | instskip(NEXT) | instid1(VALU_DEP_3)
	v_cmp_le_u32_e32 vcc_lo, s24, v13
	v_cmp_eq_u32_e64 s2, s25, v8
	s_wait_alu 0xfffd
	v_cndmask_b32_e64 v13, 0, -1, vcc_lo
	v_cmp_le_u32_e32 vcc_lo, s25, v10
	s_wait_alu 0xfffd
	v_cndmask_b32_e64 v14, 0, -1, vcc_lo
	v_cmp_le_u32_e32 vcc_lo, s24, v7
	;; [unrolled: 3-line block ×3, first 2 shown]
	s_wait_alu 0xfffd
	v_cndmask_b32_e64 v15, 0, -1, vcc_lo
	v_cmp_eq_u32_e32 vcc_lo, s25, v10
	s_wait_alu 0xf1ff
	s_delay_alu instid0(VALU_DEP_2)
	v_cndmask_b32_e64 v7, v15, v7, s2
	s_wait_alu 0xfffd
	v_cndmask_b32_e32 v10, v14, v13, vcc_lo
	v_add_co_u32 v13, vcc_lo, v4, 1
	s_wait_alu 0xfffd
	v_add_co_ci_u32_e32 v14, vcc_lo, 0, v9, vcc_lo
	s_delay_alu instid0(VALU_DEP_3) | instskip(SKIP_1) | instid1(VALU_DEP_2)
	v_cmp_ne_u32_e32 vcc_lo, 0, v10
	s_wait_alu 0xfffd
	v_cndmask_b32_e32 v8, v14, v12, vcc_lo
	v_cndmask_b32_e32 v10, v13, v11, vcc_lo
	v_cmp_ne_u32_e32 vcc_lo, 0, v7
	s_wait_alu 0xfffd
	s_delay_alu instid0(VALU_DEP_2)
	v_dual_cndmask_b32 v65, v9, v8 :: v_dual_cndmask_b32 v64, v4, v10
.LBB0_4:                                ;   in Loop: Header=BB0_2 Depth=1
	s_wait_alu 0xfffe
	s_and_not1_saveexec_b32 s2, s26
	s_cbranch_execz .LBB0_6
; %bb.5:                                ;   in Loop: Header=BB0_2 Depth=1
	v_cvt_f32_u32_e32 v4, s24
	s_sub_co_i32 s26, 0, s24
	v_mov_b32_e32 v65, v3
	s_delay_alu instid0(VALU_DEP_2) | instskip(NEXT) | instid1(TRANS32_DEP_1)
	v_rcp_iflag_f32_e32 v4, v4
	v_mul_f32_e32 v4, 0x4f7ffffe, v4
	s_delay_alu instid0(VALU_DEP_1) | instskip(SKIP_1) | instid1(VALU_DEP_1)
	v_cvt_u32_f32_e32 v4, v4
	s_wait_alu 0xfffe
	v_mul_lo_u32 v7, s26, v4
	s_delay_alu instid0(VALU_DEP_1) | instskip(NEXT) | instid1(VALU_DEP_1)
	v_mul_hi_u32 v7, v4, v7
	v_add_nc_u32_e32 v4, v4, v7
	s_delay_alu instid0(VALU_DEP_1) | instskip(NEXT) | instid1(VALU_DEP_1)
	v_mul_hi_u32 v4, v5, v4
	v_mul_lo_u32 v7, v4, s24
	v_add_nc_u32_e32 v8, 1, v4
	s_delay_alu instid0(VALU_DEP_2) | instskip(NEXT) | instid1(VALU_DEP_1)
	v_sub_nc_u32_e32 v7, v5, v7
	v_subrev_nc_u32_e32 v9, s24, v7
	v_cmp_le_u32_e32 vcc_lo, s24, v7
	s_wait_alu 0xfffd
	s_delay_alu instid0(VALU_DEP_2) | instskip(NEXT) | instid1(VALU_DEP_1)
	v_dual_cndmask_b32 v7, v7, v9 :: v_dual_cndmask_b32 v4, v4, v8
	v_cmp_le_u32_e32 vcc_lo, s24, v7
	s_delay_alu instid0(VALU_DEP_2) | instskip(SKIP_1) | instid1(VALU_DEP_1)
	v_add_nc_u32_e32 v8, 1, v4
	s_wait_alu 0xfffd
	v_cndmask_b32_e32 v64, v4, v8, vcc_lo
.LBB0_6:                                ;   in Loop: Header=BB0_2 Depth=1
	s_wait_alu 0xfffe
	s_or_b32 exec_lo, exec_lo, s2
	v_mul_lo_u32 v4, v65, s24
	s_delay_alu instid0(VALU_DEP_2)
	v_mul_lo_u32 v9, v64, s25
	s_load_b64 s[26:27], s[18:19], 0x0
	v_mad_co_u64_u32 v[7:8], null, v64, s24, 0
	s_load_b64 s[24:25], s[16:17], 0x0
	s_add_nc_u64 s[20:21], s[20:21], 1
	s_add_nc_u64 s[16:17], s[16:17], 8
	s_wait_alu 0xfffe
	v_cmp_ge_u64_e64 s2, s[20:21], s[10:11]
	s_add_nc_u64 s[18:19], s[18:19], 8
	s_add_nc_u64 s[22:23], s[22:23], 8
	v_add3_u32 v4, v8, v9, v4
	v_sub_co_u32 v5, vcc_lo, v5, v7
	s_wait_alu 0xfffd
	s_delay_alu instid0(VALU_DEP_2) | instskip(SKIP_2) | instid1(VALU_DEP_1)
	v_sub_co_ci_u32_e32 v4, vcc_lo, v6, v4, vcc_lo
	s_and_b32 vcc_lo, exec_lo, s2
	s_wait_kmcnt 0x0
	v_mul_lo_u32 v6, s26, v4
	v_mul_lo_u32 v7, s27, v5
	v_mad_co_u64_u32 v[1:2], null, s26, v5, v[1:2]
	v_mul_lo_u32 v4, s24, v4
	v_mul_lo_u32 v8, s25, v5
	v_mad_co_u64_u32 v[60:61], null, s24, v5, v[60:61]
	s_delay_alu instid0(VALU_DEP_4) | instskip(NEXT) | instid1(VALU_DEP_2)
	v_add3_u32 v2, v7, v2, v6
	v_add3_u32 v61, v8, v61, v4
	s_wait_alu 0xfffe
	s_cbranch_vccnz .LBB0_9
; %bb.7:                                ;   in Loop: Header=BB0_2 Depth=1
	v_dual_mov_b32 v5, v64 :: v_dual_mov_b32 v6, v65
	s_branch .LBB0_2
.LBB0_8:
	v_dual_mov_b32 v61, v2 :: v_dual_mov_b32 v60, v1
	v_dual_mov_b32 v65, v6 :: v_dual_mov_b32 v64, v5
.LBB0_9:
	s_load_b64 s[0:1], s[0:1], 0x28
	v_mul_hi_u32 v3, 0x1501502, v0
	s_lshl_b64 s[10:11], s[10:11], 3
                                        ; implicit-def: $vgpr62
	s_wait_alu 0xfffe
	s_add_nc_u64 s[2:3], s[14:15], s[10:11]
	s_wait_kmcnt 0x0
	v_cmp_gt_u64_e32 vcc_lo, s[0:1], v[64:65]
	v_cmp_le_u64_e64 s0, s[0:1], v[64:65]
	s_delay_alu instid0(VALU_DEP_1)
	s_and_saveexec_b32 s1, s0
	s_wait_alu 0xfffe
	s_xor_b32 s0, exec_lo, s1
; %bb.10:
	v_mul_u32_u24_e32 v1, 0xc3, v3
                                        ; implicit-def: $vgpr3
	s_delay_alu instid0(VALU_DEP_1)
	v_sub_nc_u32_e32 v62, v0, v1
                                        ; implicit-def: $vgpr0
                                        ; implicit-def: $vgpr1_vgpr2
; %bb.11:
	s_wait_alu 0xfffe
	s_or_saveexec_b32 s1, s0
	s_load_b64 s[2:3], s[2:3], 0x0
	s_xor_b32 exec_lo, exec_lo, s1
	s_cbranch_execz .LBB0_15
; %bb.12:
	s_add_nc_u64 s[10:11], s[12:13], s[10:11]
	v_lshlrev_b64_e32 v[1:2], 4, v[1:2]
	s_load_b64 s[10:11], s[10:11], 0x0
	s_wait_kmcnt 0x0
	v_mul_lo_u32 v6, s11, v64
	v_mul_lo_u32 v7, s10, v65
	v_mad_co_u64_u32 v[4:5], null, s10, v64, 0
	s_delay_alu instid0(VALU_DEP_1) | instskip(SKIP_1) | instid1(VALU_DEP_2)
	v_add3_u32 v5, v5, v7, v6
	v_mul_u32_u24_e32 v6, 0xc3, v3
	v_lshlrev_b64_e32 v[3:4], 4, v[4:5]
	s_delay_alu instid0(VALU_DEP_2) | instskip(NEXT) | instid1(VALU_DEP_1)
	v_sub_nc_u32_e32 v62, v0, v6
	v_lshlrev_b32_e32 v42, 4, v62
	s_delay_alu instid0(VALU_DEP_3) | instskip(SKIP_1) | instid1(VALU_DEP_4)
	v_add_co_u32 v0, s0, s4, v3
	s_wait_alu 0xf1ff
	v_add_co_ci_u32_e64 v3, s0, s5, v4, s0
	s_mov_b32 s4, exec_lo
	s_delay_alu instid0(VALU_DEP_2) | instskip(SKIP_1) | instid1(VALU_DEP_2)
	v_add_co_u32 v0, s0, v0, v1
	s_wait_alu 0xf1ff
	v_add_co_ci_u32_e64 v1, s0, v3, v2, s0
	s_delay_alu instid0(VALU_DEP_2) | instskip(SKIP_1) | instid1(VALU_DEP_2)
	v_add_co_u32 v38, s0, v0, v42
	s_wait_alu 0xf1ff
	v_add_co_ci_u32_e64 v39, s0, 0, v1, s0
	s_clause 0x9
	global_load_b128 v[2:5], v[38:39], off
	global_load_b128 v[6:9], v[38:39], off offset:3120
	global_load_b128 v[10:13], v[38:39], off offset:6240
	global_load_b128 v[14:17], v[38:39], off offset:9360
	global_load_b128 v[18:21], v[38:39], off offset:12480
	global_load_b128 v[22:25], v[38:39], off offset:15600
	global_load_b128 v[26:29], v[38:39], off offset:18720
	global_load_b128 v[30:33], v[38:39], off offset:21840
	global_load_b128 v[34:37], v[38:39], off offset:24960
	global_load_b128 v[38:41], v[38:39], off offset:28080
	v_add_nc_u32_e32 v42, 0, v42
	s_wait_loadcnt 0x9
	ds_store_b128 v42, v[2:5]
	s_wait_loadcnt 0x8
	ds_store_b128 v42, v[6:9] offset:3120
	s_wait_loadcnt 0x7
	ds_store_b128 v42, v[10:13] offset:6240
	;; [unrolled: 2-line block ×9, first 2 shown]
	v_cmpx_eq_u32_e32 0xc2, v62
	s_cbranch_execz .LBB0_14
; %bb.13:
	global_load_b128 v[0:3], v[0:1], off offset:31200
	v_mov_b32_e32 v4, 0
	v_mov_b32_e32 v62, 0xc2
	s_wait_loadcnt 0x0
	ds_store_b128 v4, v[0:3] offset:31200
.LBB0_14:
	s_wait_alu 0xfffe
	s_or_b32 exec_lo, exec_lo, s4
.LBB0_15:
	s_delay_alu instid0(SALU_CYCLE_1)
	s_or_b32 exec_lo, exec_lo, s1
	v_lshlrev_b32_e32 v0, 4, v62
	global_wb scope:SCOPE_SE
	s_wait_dscnt 0x0
	s_wait_kmcnt 0x0
	s_barrier_signal -1
	s_barrier_wait -1
	global_inv scope:SCOPE_SE
	v_add_nc_u32_e32 v162, 0, v0
	v_sub_nc_u32_e32 v10, 0, v0
	s_mov_b32 s1, exec_lo
                                        ; implicit-def: $vgpr4_vgpr5
	ds_load_b64 v[6:7], v162
	ds_load_b64 v[8:9], v10 offset:31200
	s_wait_dscnt 0x0
	v_add_f64_e32 v[0:1], v[6:7], v[8:9]
	v_add_f64_e64 v[2:3], v[6:7], -v[8:9]
	v_cmpx_ne_u32_e32 0, v62
	s_wait_alu 0xfffe
	s_xor_b32 s1, exec_lo, s1
	s_cbranch_execz .LBB0_17
; %bb.16:
	v_mov_b32_e32 v63, 0
	v_add_f64_e32 v[13:14], v[6:7], v[8:9]
	v_add_f64_e64 v[15:16], v[6:7], -v[8:9]
	s_delay_alu instid0(VALU_DEP_3) | instskip(NEXT) | instid1(VALU_DEP_1)
	v_lshlrev_b64_e32 v[0:1], 4, v[62:63]
	v_add_co_u32 v0, s0, s8, v0
	s_wait_alu 0xf1ff
	s_delay_alu instid0(VALU_DEP_2)
	v_add_co_ci_u32_e64 v1, s0, s9, v1, s0
	global_load_b128 v[2:5], v[0:1], off offset:30992
	ds_load_b64 v[0:1], v10 offset:31208
	ds_load_b64 v[11:12], v162 offset:8
	s_wait_dscnt 0x0
	v_add_f64_e32 v[6:7], v[0:1], v[11:12]
	v_add_f64_e64 v[0:1], v[11:12], -v[0:1]
	s_wait_loadcnt 0x0
	v_fma_f64 v[8:9], v[15:16], v[4:5], v[13:14]
	v_fma_f64 v[11:12], -v[15:16], v[4:5], v[13:14]
	s_delay_alu instid0(VALU_DEP_3) | instskip(SKIP_1) | instid1(VALU_DEP_4)
	v_fma_f64 v[13:14], v[6:7], v[4:5], -v[0:1]
	v_fma_f64 v[4:5], v[6:7], v[4:5], v[0:1]
	v_fma_f64 v[0:1], -v[6:7], v[2:3], v[8:9]
	s_delay_alu instid0(VALU_DEP_4) | instskip(NEXT) | instid1(VALU_DEP_4)
	v_fma_f64 v[6:7], v[6:7], v[2:3], v[11:12]
	v_fma_f64 v[8:9], v[15:16], v[2:3], v[13:14]
	s_delay_alu instid0(VALU_DEP_4)
	v_fma_f64 v[2:3], v[15:16], v[2:3], v[4:5]
	v_dual_mov_b32 v4, v62 :: v_dual_mov_b32 v5, v63
	ds_store_b128 v10, v[6:9] offset:31200
.LBB0_17:
	s_wait_alu 0xfffe
	s_and_not1_saveexec_b32 s0, s1
	s_cbranch_execz .LBB0_19
; %bb.18:
	v_mov_b32_e32 v8, 0
	ds_load_b128 v[4:7], v8 offset:15600
	s_wait_dscnt 0x0
	v_add_f64_e32 v[11:12], v[4:5], v[4:5]
	v_mul_f64_e32 v[13:14], -2.0, v[6:7]
	v_mov_b32_e32 v4, 0
	v_mov_b32_e32 v5, 0
	ds_store_b128 v8, v[11:14] offset:15600
.LBB0_19:
	s_wait_alu 0xfffe
	s_or_b32 exec_lo, exec_lo, s0
	v_lshlrev_b64_e32 v[4:5], 4, v[4:5]
	s_add_nc_u64 s[0:1], s[8:9], 0x7910
	s_mov_b32 s4, 0x42a4c3d2
	s_mov_b32 s10, 0x66966769
	;; [unrolled: 1-line block ×4, first 2 shown]
	s_wait_alu 0xfffe
	v_add_co_u32 v23, s0, s0, v4
	s_wait_alu 0xf1ff
	v_add_co_ci_u32_e64 v24, s0, s1, v5, s0
	s_mov_b32 s12, 0x1ea71119
	s_mov_b32 s16, 0x2ef20147
	;; [unrolled: 1-line block ×3, first 2 shown]
	s_clause 0x1
	global_load_b128 v[4:7], v[23:24], off offset:3120
	global_load_b128 v[11:14], v[23:24], off offset:6240
	ds_store_b128 v162, v[0:3]
	ds_load_b128 v[0:3], v162 offset:3120
	ds_load_b128 v[15:18], v10 offset:28080
	global_load_b128 v[19:22], v[23:24], off offset:9360
	s_mov_b32 s24, 0xebaa3ed8
	s_mov_b32 s13, 0x3fe22d96
	;; [unrolled: 1-line block ×18, first 2 shown]
	s_wait_dscnt 0x0
	v_add_f64_e32 v[8:9], v[0:1], v[15:16]
	v_add_f64_e32 v[25:26], v[17:18], v[2:3]
	v_add_f64_e64 v[15:16], v[0:1], -v[15:16]
	v_add_f64_e64 v[0:1], v[2:3], -v[17:18]
	s_mov_b32 s29, 0x3fefc445
	s_mov_b32 s35, 0x3fec55a7
	;; [unrolled: 1-line block ×4, first 2 shown]
	s_wait_alu 0xfffe
	s_mov_b32 s38, s26
	s_mov_b32 s33, exec_lo
	s_wait_loadcnt 0x2
	s_delay_alu instid0(VALU_DEP_2) | instskip(NEXT) | instid1(VALU_DEP_2)
	v_fma_f64 v[2:3], v[15:16], v[6:7], v[8:9]
	v_fma_f64 v[17:18], v[25:26], v[6:7], v[0:1]
	v_fma_f64 v[8:9], -v[15:16], v[6:7], v[8:9]
	v_fma_f64 v[27:28], v[25:26], v[6:7], -v[0:1]
	s_delay_alu instid0(VALU_DEP_4) | instskip(NEXT) | instid1(VALU_DEP_4)
	v_fma_f64 v[0:1], -v[25:26], v[4:5], v[2:3]
	v_fma_f64 v[2:3], v[15:16], v[4:5], v[17:18]
	s_delay_alu instid0(VALU_DEP_4) | instskip(NEXT) | instid1(VALU_DEP_4)
	v_fma_f64 v[6:7], v[25:26], v[4:5], v[8:9]
	v_fma_f64 v[8:9], v[15:16], v[4:5], v[27:28]
	ds_store_b128 v162, v[0:3] offset:3120
	ds_store_b128 v10, v[6:9] offset:28080
	ds_load_b128 v[0:3], v162 offset:6240
	ds_load_b128 v[4:7], v10 offset:24960
	global_load_b128 v[15:18], v[23:24], off offset:12480
	s_wait_dscnt 0x0
	v_add_f64_e32 v[8:9], v[0:1], v[4:5]
	v_add_f64_e32 v[23:24], v[6:7], v[2:3]
	v_add_f64_e64 v[25:26], v[0:1], -v[4:5]
	v_add_f64_e64 v[0:1], v[2:3], -v[6:7]
	s_wait_loadcnt 0x2
	s_delay_alu instid0(VALU_DEP_2) | instskip(NEXT) | instid1(VALU_DEP_2)
	v_fma_f64 v[2:3], v[25:26], v[13:14], v[8:9]
	v_fma_f64 v[4:5], v[23:24], v[13:14], v[0:1]
	v_fma_f64 v[6:7], -v[25:26], v[13:14], v[8:9]
	v_fma_f64 v[8:9], v[23:24], v[13:14], -v[0:1]
	s_delay_alu instid0(VALU_DEP_4) | instskip(NEXT) | instid1(VALU_DEP_4)
	v_fma_f64 v[0:1], -v[23:24], v[11:12], v[2:3]
	v_fma_f64 v[2:3], v[25:26], v[11:12], v[4:5]
	s_delay_alu instid0(VALU_DEP_4) | instskip(NEXT) | instid1(VALU_DEP_4)
	v_fma_f64 v[4:5], v[23:24], v[11:12], v[6:7]
	v_fma_f64 v[6:7], v[25:26], v[11:12], v[8:9]
	ds_store_b128 v162, v[0:3] offset:6240
	ds_store_b128 v10, v[4:7] offset:24960
	ds_load_b128 v[0:3], v162 offset:9360
	ds_load_b128 v[4:7], v10 offset:21840
	s_wait_dscnt 0x0
	v_add_f64_e32 v[8:9], v[0:1], v[4:5]
	v_add_f64_e32 v[11:12], v[6:7], v[2:3]
	v_add_f64_e64 v[13:14], v[0:1], -v[4:5]
	v_add_f64_e64 v[0:1], v[2:3], -v[6:7]
	s_wait_loadcnt 0x1
	s_delay_alu instid0(VALU_DEP_2) | instskip(NEXT) | instid1(VALU_DEP_2)
	v_fma_f64 v[2:3], v[13:14], v[21:22], v[8:9]
	v_fma_f64 v[4:5], v[11:12], v[21:22], v[0:1]
	v_fma_f64 v[6:7], -v[13:14], v[21:22], v[8:9]
	v_fma_f64 v[8:9], v[11:12], v[21:22], -v[0:1]
	s_delay_alu instid0(VALU_DEP_4) | instskip(NEXT) | instid1(VALU_DEP_4)
	v_fma_f64 v[0:1], -v[11:12], v[19:20], v[2:3]
	v_fma_f64 v[2:3], v[13:14], v[19:20], v[4:5]
	s_delay_alu instid0(VALU_DEP_4) | instskip(NEXT) | instid1(VALU_DEP_4)
	v_fma_f64 v[4:5], v[11:12], v[19:20], v[6:7]
	v_fma_f64 v[6:7], v[13:14], v[19:20], v[8:9]
	ds_store_b128 v162, v[0:3] offset:9360
	ds_store_b128 v10, v[4:7] offset:21840
	ds_load_b128 v[0:3], v162 offset:12480
	ds_load_b128 v[4:7], v10 offset:18720
	s_wait_dscnt 0x0
	v_add_f64_e32 v[8:9], v[0:1], v[4:5]
	v_add_f64_e32 v[11:12], v[6:7], v[2:3]
	v_add_f64_e64 v[13:14], v[0:1], -v[4:5]
	v_add_f64_e64 v[0:1], v[2:3], -v[6:7]
	s_wait_loadcnt 0x0
	s_delay_alu instid0(VALU_DEP_2) | instskip(NEXT) | instid1(VALU_DEP_2)
	v_fma_f64 v[2:3], v[13:14], v[17:18], v[8:9]
	v_fma_f64 v[4:5], v[11:12], v[17:18], v[0:1]
	v_fma_f64 v[6:7], -v[13:14], v[17:18], v[8:9]
	v_fma_f64 v[8:9], v[11:12], v[17:18], -v[0:1]
	s_delay_alu instid0(VALU_DEP_4) | instskip(NEXT) | instid1(VALU_DEP_4)
	v_fma_f64 v[0:1], -v[11:12], v[15:16], v[2:3]
	v_fma_f64 v[2:3], v[13:14], v[15:16], v[4:5]
	s_delay_alu instid0(VALU_DEP_4) | instskip(NEXT) | instid1(VALU_DEP_4)
	v_fma_f64 v[4:5], v[11:12], v[15:16], v[6:7]
	v_fma_f64 v[6:7], v[13:14], v[15:16], v[8:9]
	ds_store_b128 v162, v[0:3] offset:12480
	ds_store_b128 v10, v[4:7] offset:18720
	global_wb scope:SCOPE_SE
	s_wait_dscnt 0x0
	s_barrier_signal -1
	s_barrier_wait -1
	global_inv scope:SCOPE_SE
	global_wb scope:SCOPE_SE
	s_barrier_signal -1
	s_barrier_wait -1
	global_inv scope:SCOPE_SE
	ds_load_b128 v[8:11], v162 offset:28800
	ds_load_b128 v[44:47], v162 offset:2400
	ds_load_b128 v[20:23], v162
	ds_load_b128 v[12:15], v162 offset:26400
	ds_load_b128 v[48:51], v162 offset:4800
	ds_load_b128 v[52:55], v162 offset:7200
	ds_load_b128 v[16:19], v162 offset:24000
	ds_load_b128 v[24:27], v162 offset:21600
	ds_load_b128 v[56:59], v162 offset:9600
	ds_load_b128 v[40:43], v162 offset:12000
	ds_load_b128 v[28:31], v162 offset:19200
	s_wait_dscnt 0x9
	v_add_f64_e64 v[98:99], v[46:47], -v[10:11]
	v_add_f64_e64 v[92:93], v[44:45], -v[8:9]
	s_wait_dscnt 0x6
	v_add_f64_e64 v[130:131], v[50:51], -v[14:15]
	v_add_f64_e64 v[84:85], v[48:49], -v[12:13]
	v_add_f64_e32 v[88:89], v[44:45], v[8:9]
	v_add_f64_e32 v[158:159], v[46:47], v[10:11]
	s_wait_dscnt 0x4
	v_add_f64_e64 v[152:153], v[54:55], -v[18:19]
	v_add_f64_e64 v[104:105], v[52:53], -v[16:17]
	v_add_f64_e32 v[94:95], v[48:49], v[12:13]
	v_add_f64_e32 v[154:155], v[50:51], v[14:15]
	;; [unrolled: 1-line block ×4, first 2 shown]
	s_wait_dscnt 0x2
	v_add_f64_e64 v[90:91], v[58:59], -v[26:27]
	v_add_f64_e64 v[82:83], v[56:57], -v[24:25]
	v_add_f64_e32 v[86:87], v[56:57], v[24:25]
	v_add_f64_e32 v[160:161], v[58:59], v[26:27]
	s_wait_dscnt 0x0
	v_add_f64_e64 v[96:97], v[42:43], -v[30:31]
	v_add_f64_e64 v[70:71], v[40:41], -v[28:29]
	v_add_f64_e32 v[78:79], v[40:41], v[28:29]
	v_add_f64_e32 v[150:151], v[42:43], v[30:31]
	v_mul_f64_e32 v[112:113], s[4:5], v[98:99]
	v_mul_f64_e32 v[116:117], s[4:5], v[92:93]
	;; [unrolled: 1-line block ×20, first 2 shown]
	v_fma_f64 v[0:1], v[88:89], s[12:13], v[112:113]
	v_fma_f64 v[2:3], v[158:159], s[12:13], -v[116:117]
	v_fma_f64 v[4:5], v[88:89], s[24:25], v[138:139]
	v_fma_f64 v[6:7], v[158:159], s[24:25], -v[142:143]
	v_fma_f64 v[32:33], v[94:95], s[20:21], v[106:107]
	v_fma_f64 v[34:35], v[154:155], s[20:21], -v[110:111]
	v_fma_f64 v[36:37], v[94:95], s[18:19], v[114:115]
	v_fma_f64 v[38:39], v[154:155], s[18:19], -v[122:123]
	v_fma_f64 v[68:69], v[100:101], s[18:19], v[118:119]
	v_fma_f64 v[72:73], v[156:157], s[18:19], -v[120:121]
	v_fma_f64 v[74:75], v[100:101], s[20:21], v[124:125]
	v_fma_f64 v[76:77], v[156:157], s[20:21], -v[136:137]
	v_fma_f64 v[163:164], v[86:87], s[30:31], v[126:127]
	v_fma_f64 v[165:166], v[160:161], s[30:31], -v[128:129]
	v_fma_f64 v[167:168], v[86:87], s[34:35], v[132:133]
	v_fma_f64 v[169:170], v[160:161], s[34:35], -v[146:147]
	v_fma_f64 v[171:172], v[78:79], s[24:25], v[134:135]
	v_fma_f64 v[173:174], v[150:151], s[24:25], -v[140:141]
	v_fma_f64 v[175:176], v[78:79], s[12:13], v[144:145]
	v_fma_f64 v[177:178], v[150:151], s[12:13], -v[148:149]
	v_add_f64_e32 v[0:1], v[20:21], v[0:1]
	v_add_f64_e32 v[2:3], v[22:23], v[2:3]
	;; [unrolled: 1-line block ×4, first 2 shown]
	s_delay_alu instid0(VALU_DEP_4) | instskip(NEXT) | instid1(VALU_DEP_4)
	v_add_f64_e32 v[0:1], v[32:33], v[0:1]
	v_add_f64_e32 v[2:3], v[34:35], v[2:3]
	s_delay_alu instid0(VALU_DEP_4) | instskip(NEXT) | instid1(VALU_DEP_4)
	v_add_f64_e32 v[4:5], v[36:37], v[4:5]
	v_add_f64_e32 v[6:7], v[38:39], v[6:7]
	ds_load_b128 v[36:39], v162 offset:14400
	ds_load_b128 v[32:35], v162 offset:16800
	global_wb scope:SCOPE_SE
	s_wait_dscnt 0x0
	s_barrier_signal -1
	s_barrier_wait -1
	global_inv scope:SCOPE_SE
	v_add_f64_e64 v[102:103], v[38:39], -v[34:35]
	v_add_f64_e64 v[66:67], v[36:37], -v[32:33]
	v_add_f64_e32 v[108:109], v[38:39], v[34:35]
	v_add_f64_e32 v[0:1], v[68:69], v[0:1]
	;; [unrolled: 1-line block ×6, first 2 shown]
	v_mul_f64_e32 v[72:73], s[36:37], v[102:103]
	v_mul_f64_e32 v[74:75], s[36:37], v[66:67]
	;; [unrolled: 1-line block ×4, first 2 shown]
	v_add_f64_e32 v[0:1], v[163:164], v[0:1]
	v_add_f64_e32 v[2:3], v[165:166], v[2:3]
	;; [unrolled: 1-line block ×4, first 2 shown]
	v_fma_f64 v[163:164], v[68:69], s[34:35], v[72:73]
	v_fma_f64 v[165:166], v[108:109], s[34:35], -v[74:75]
	v_fma_f64 v[167:168], v[68:69], s[30:31], v[76:77]
	v_fma_f64 v[169:170], v[108:109], s[30:31], -v[80:81]
	v_add_f64_e32 v[0:1], v[171:172], v[0:1]
	v_add_f64_e32 v[2:3], v[173:174], v[2:3]
	;; [unrolled: 1-line block ×4, first 2 shown]
	s_delay_alu instid0(VALU_DEP_4) | instskip(NEXT) | instid1(VALU_DEP_4)
	v_add_f64_e32 v[4:5], v[163:164], v[0:1]
	v_add_f64_e32 v[6:7], v[165:166], v[2:3]
	s_delay_alu instid0(VALU_DEP_4) | instskip(NEXT) | instid1(VALU_DEP_4)
	v_add_f64_e32 v[0:1], v[167:168], v[171:172]
	v_add_f64_e32 v[2:3], v[169:170], v[173:174]
	v_cmpx_gt_u32_e32 0x96, v62
	s_cbranch_execz .LBB0_21
; %bb.20:
	v_add_f64_e32 v[46:47], v[22:23], v[46:47]
	v_add_f64_e32 v[44:45], v[20:21], v[44:45]
	v_mul_f64_e32 v[163:164], s[24:25], v[158:159]
	v_mul_f64_e32 v[165:166], s[20:21], v[158:159]
	;; [unrolled: 1-line block ×5, first 2 shown]
	s_mov_b32 s41, 0xbfddbe06
	s_mov_b32 s40, s36
	v_mul_f64_e32 v[185:186], s[18:19], v[94:95]
	v_mul_f64_e32 v[169:170], s[16:17], v[98:99]
	;; [unrolled: 1-line block ×4, first 2 shown]
	s_mov_b32 s1, 0x3fcea1e5
	s_mov_b32 s0, s14
	v_mul_f64_e32 v[179:180], s[20:21], v[156:157]
	v_mul_f64_e32 v[181:182], s[18:19], v[154:155]
	;; [unrolled: 1-line block ×22, first 2 shown]
	s_mov_b32 s43, 0x3fea55e2
	v_add_f64_e32 v[46:47], v[46:47], v[50:51]
	v_add_f64_e32 v[44:45], v[44:45], v[48:49]
	v_mul_f64_e32 v[50:51], s[14:15], v[98:99]
	v_mul_f64_e32 v[48:49], s[18:19], v[158:159]
	v_add_f64_e32 v[142:143], v[142:143], v[163:164]
	v_add_f64_e64 v[138:139], v[167:168], -v[138:139]
	v_add_f64_e32 v[116:117], v[116:117], v[173:174]
	v_fma_f64 v[173:174], v[92:93], s[22:23], v[165:166]
	v_fma_f64 v[165:166], v[92:93], s[16:17], v[165:166]
	v_add_f64_e64 v[112:113], v[171:172], -v[112:113]
	v_add_f64_e64 v[114:115], v[185:186], -v[114:115]
	v_add_f64_e32 v[140:141], v[140:141], v[187:188]
	v_fma_f64 v[187:188], v[88:89], s[20:21], v[169:170]
	v_fma_f64 v[169:170], v[88:89], s[20:21], -v[169:170]
	v_add_f64_e64 v[106:107], v[201:202], -v[106:107]
	s_mov_b32 s42, s4
	v_add_f64_e32 v[122:123], v[122:123], v[181:182]
	v_add_f64_e32 v[128:129], v[128:129], v[189:190]
	;; [unrolled: 1-line block ×4, first 2 shown]
	v_add_f64_e64 v[126:127], v[195:196], -v[126:127]
	v_add_f64_e64 v[134:135], v[197:198], -v[134:135]
	;; [unrolled: 1-line block ×3, first 2 shown]
	v_fma_f64 v[189:190], v[104:105], s[26:27], v[209:210]
	v_fma_f64 v[191:192], v[104:105], s[38:39], v[209:210]
	;; [unrolled: 1-line block ×9, first 2 shown]
	v_fma_f64 v[219:220], v[100:101], s[30:31], -v[221:222]
	v_mul_f64_e32 v[225:226], s[36:37], v[152:153]
	v_mul_f64_e32 v[152:153], s[10:11], v[152:153]
	;; [unrolled: 1-line block ×5, first 2 shown]
	v_add_f64_e32 v[46:47], v[46:47], v[54:55]
	v_add_f64_e32 v[44:45], v[44:45], v[52:53]
	v_mul_f64_e32 v[52:53], s[30:31], v[158:159]
	v_mul_f64_e32 v[54:55], s[38:39], v[98:99]
	;; [unrolled: 1-line block ×4, first 2 shown]
	s_wait_alu 0xfffe
	v_fma_f64 v[163:164], v[92:93], s[0:1], v[48:49]
	v_fma_f64 v[48:49], v[92:93], s[14:15], v[48:49]
	v_add_f64_e32 v[165:166], v[22:23], v[165:166]
	v_add_f64_e32 v[142:143], v[22:23], v[142:143]
	;; [unrolled: 1-line block ×8, first 2 shown]
	v_mul_f64_e32 v[205:206], s[18:19], v[160:161]
	v_mul_f64_e32 v[207:208], s[24:25], v[160:161]
	;; [unrolled: 1-line block ×5, first 2 shown]
	v_add_f64_e32 v[136:137], v[136:137], v[179:180]
	v_mul_f64_e32 v[183:184], s[12:13], v[78:79]
	v_mul_f64_e32 v[237:238], s[20:21], v[150:151]
	;; [unrolled: 1-line block ×4, first 2 shown]
	v_add_f64_e32 v[148:149], v[148:149], v[175:176]
	v_mul_f64_e32 v[175:176], s[36:37], v[96:97]
	v_add_f64_e32 v[146:147], v[146:147], v[177:178]
	v_add_f64_e32 v[46:47], v[46:47], v[58:59]
	;; [unrolled: 1-line block ×3, first 2 shown]
	v_mul_f64_e32 v[58:59], s[20:21], v[100:101]
	v_fma_f64 v[167:168], v[92:93], s[26:27], v[52:53]
	v_fma_f64 v[52:53], v[92:93], s[38:39], v[52:53]
	v_fma_f64 v[185:186], v[88:89], s[30:31], v[54:55]
	v_fma_f64 v[54:55], v[88:89], s[30:31], -v[54:55]
	v_fma_f64 v[171:172], v[92:93], s[36:37], v[158:159]
	v_fma_f64 v[92:93], v[92:93], s[40:41], v[158:159]
	;; [unrolled: 1-line block ×3, first 2 shown]
	v_add_f64_e32 v[163:164], v[22:23], v[163:164]
	v_add_f64_e32 v[48:49], v[22:23], v[48:49]
	;; [unrolled: 1-line block ×6, first 2 shown]
	v_mul_f64_e32 v[56:57], s[34:35], v[86:87]
	v_add_f64_e32 v[112:113], v[114:115], v[138:139]
	v_add_f64_e32 v[116:117], v[211:212], v[173:174]
	v_mul_f64_e32 v[158:159], s[16:17], v[96:97]
	v_mul_f64_e32 v[177:178], s[38:39], v[96:97]
	;; [unrolled: 1-line block ×3, first 2 shown]
	v_add_f64_e64 v[144:145], v[183:184], -v[144:145]
	v_mul_f64_e32 v[183:184], s[34:35], v[68:69]
	v_fma_f64 v[173:174], v[70:71], s[16:17], v[237:238]
	v_add_f64_e32 v[42:43], v[46:47], v[42:43]
	v_add_f64_e32 v[40:41], v[44:45], v[40:41]
	v_add_f64_e64 v[58:59], v[58:59], -v[124:125]
	v_fma_f64 v[124:125], v[88:89], s[18:19], v[50:51]
	v_fma_f64 v[50:51], v[88:89], s[18:19], -v[50:51]
	v_fma_f64 v[88:89], v[88:89], s[34:35], -v[98:99]
	v_fma_f64 v[98:99], v[104:105], s[28:29], v[156:157]
	v_fma_f64 v[104:105], v[104:105], s[10:11], v[156:157]
	v_fma_f64 v[156:157], v[84:85], s[40:41], v[215:216]
	v_fma_f64 v[215:216], v[84:85], s[42:43], v[154:155]
	v_add_f64_e32 v[167:168], v[22:23], v[167:168]
	v_add_f64_e32 v[52:53], v[22:23], v[52:53]
	;; [unrolled: 1-line block ×7, first 2 shown]
	v_fma_f64 v[201:202], v[100:101], s[12:13], -v[223:224]
	v_add_f64_e32 v[48:49], v[209:210], v[48:49]
	v_mul_f64_e32 v[44:45], s[34:35], v[150:151]
	v_mul_f64_e32 v[46:47], s[18:19], v[150:151]
	v_add_f64_e32 v[122:123], v[136:137], v[122:123]
	v_add_f64_e32 v[110:111], v[120:121], v[110:111]
	v_add_f64_e32 v[106:107], v[118:119], v[106:107]
	v_add_f64_e64 v[56:57], v[56:57], -v[132:133]
	v_mul_f64_e32 v[150:151], s[30:31], v[150:151]
	v_mul_f64_e32 v[209:210], s[30:31], v[108:109]
	v_fma_f64 v[118:119], v[78:79], s[34:35], -v[175:176]
	v_fma_f64 v[120:121], v[78:79], s[30:31], v[177:178]
	v_mul_f64_e32 v[132:133], s[20:21], v[108:109]
	v_add_f64_e64 v[72:73], v[183:184], -v[72:73]
	v_fma_f64 v[136:137], v[66:67], s[10:11], v[179:180]
	v_add_f64_e32 v[38:39], v[42:43], v[38:39]
	v_add_f64_e32 v[36:37], v[40:41], v[36:37]
	v_fma_f64 v[40:41], v[84:85], s[10:11], v[217:218]
	v_fma_f64 v[42:43], v[84:85], s[28:29], v[217:218]
	;; [unrolled: 1-line block ×5, first 2 shown]
	v_add_f64_e32 v[124:125], v[20:21], v[124:125]
	v_fma_f64 v[221:222], v[94:95], s[34:35], -v[227:228]
	v_fma_f64 v[227:228], v[94:95], s[24:25], v[229:230]
	v_fma_f64 v[229:230], v[94:95], s[24:25], -v[229:230]
	v_add_f64_e32 v[50:51], v[20:21], v[50:51]
	v_add_f64_e32 v[20:21], v[20:21], v[88:89]
	v_fma_f64 v[88:89], v[100:101], s[12:13], v[223:224]
	v_fma_f64 v[223:224], v[94:95], s[30:31], -v[231:232]
	v_fma_f64 v[231:232], v[94:95], s[30:31], v[231:232]
	v_add_f64_e32 v[156:157], v[156:157], v[163:164]
	v_add_f64_e32 v[142:143], v[215:216], v[171:172]
	;; [unrolled: 1-line block ×4, first 2 shown]
	v_mul_f64_e32 v[163:164], s[30:31], v[68:69]
	v_fma_f64 v[171:172], v[70:71], s[22:23], v[237:238]
	v_add_f64_e32 v[106:107], v[126:127], v[106:107]
	v_add_f64_e32 v[80:81], v[80:81], v[209:210]
	v_add_f64_e32 v[34:35], v[38:39], v[34:35]
	v_fma_f64 v[38:39], v[94:95], s[12:13], -v[130:131]
	v_add_f64_e32 v[32:33], v[36:37], v[32:33]
	v_fma_f64 v[94:95], v[94:95], s[12:13], v[130:131]
	v_add_f64_e32 v[40:41], v[40:41], v[167:168]
	v_mul_f64_e32 v[167:168], s[42:43], v[90:91]
	v_mul_f64_e32 v[90:91], s[0:1], v[90:91]
	v_add_f64_e32 v[124:125], v[217:218], v[124:125]
	v_add_f64_e32 v[42:43], v[42:43], v[52:53]
	v_fma_f64 v[36:37], v[100:101], s[34:35], v[225:226]
	v_add_f64_e32 v[54:55], v[229:230], v[54:55]
	v_fma_f64 v[225:226], v[100:101], s[34:35], -v[225:226]
	v_add_f64_e32 v[185:186], v[227:228], v[185:186]
	v_add_f64_e32 v[50:51], v[221:222], v[50:51]
	v_add_f64_e32 v[114:115], v[223:224], v[169:170]
	v_add_f64_e32 v[138:139], v[231:232], v[187:188]
	v_fma_f64 v[130:131], v[100:101], s[24:25], v[152:153]
	v_fma_f64 v[100:101], v[100:101], s[24:25], -v[152:153]
	v_add_f64_e32 v[22:23], v[84:85], v[22:23]
	v_fma_f64 v[52:53], v[82:83], s[4:5], v[203:204]
	v_fma_f64 v[203:204], v[82:83], s[42:43], v[203:204]
	v_fma_f64 v[229:230], v[82:83], s[14:15], v[205:206]
	v_fma_f64 v[205:206], v[82:83], s[0:1], v[205:206]
	v_fma_f64 v[84:85], v[82:83], s[22:23], v[160:161]
	v_fma_f64 v[169:170], v[86:87], s[20:21], -v[235:236]
	v_add_f64_e32 v[98:99], v[98:99], v[142:143]
	v_mul_f64_e32 v[221:222], s[34:35], v[108:109]
	v_fma_f64 v[187:188], v[70:71], s[40:41], v[44:45]
	v_fma_f64 v[44:45], v[70:71], s[36:37], v[44:45]
	v_mul_f64_e32 v[217:218], s[12:13], v[108:109]
	v_add_f64_e32 v[56:57], v[56:57], v[58:59]
	v_mul_f64_e32 v[152:153], s[16:17], v[102:103]
	v_mul_f64_e32 v[108:109], s[18:19], v[108:109]
	;; [unrolled: 1-line block ×4, first 2 shown]
	v_add_f64_e64 v[76:77], v[163:164], -v[76:77]
	v_fma_f64 v[142:143], v[66:67], s[28:29], v[179:180]
	v_add_f64_e32 v[30:31], v[34:35], v[30:31]
	v_add_f64_e32 v[20:21], v[38:39], v[20:21]
	;; [unrolled: 1-line block ×4, first 2 shown]
	v_fma_f64 v[34:35], v[82:83], s[28:29], v[207:208]
	v_fma_f64 v[38:39], v[82:83], s[10:11], v[207:208]
	;; [unrolled: 1-line block ×4, first 2 shown]
	v_fma_f64 v[94:95], v[86:87], s[24:25], -v[233:234]
	v_fma_f64 v[160:161], v[86:87], s[20:21], v[235:236]
	v_fma_f64 v[207:208], v[86:87], s[12:13], v[167:168]
	v_fma_f64 v[167:168], v[86:87], s[12:13], -v[167:168]
	v_fma_f64 v[211:212], v[86:87], s[18:19], v[90:91]
	v_fma_f64 v[86:87], v[86:87], s[18:19], -v[90:91]
	v_add_f64_e32 v[124:125], v[154:155], v[124:125]
	v_add_f64_e32 v[42:43], v[195:196], v[42:43]
	;; [unrolled: 1-line block ×12, first 2 shown]
	v_fma_f64 v[104:105], v[78:79], s[20:21], -v[158:159]
	v_fma_f64 v[116:117], v[78:79], s[34:35], v[175:176]
	v_fma_f64 v[156:157], v[78:79], s[18:19], v[96:97]
	v_add_f64_e32 v[48:49], v[203:204], v[48:49]
	v_add_f64_e32 v[84:85], v[84:85], v[98:99]
	;; [unrolled: 1-line block ×3, first 2 shown]
	v_fma_f64 v[98:99], v[66:67], s[42:43], v[217:218]
	v_add_f64_e32 v[56:57], v[144:145], v[56:57]
	v_fma_f64 v[138:139], v[68:69], s[24:25], v[181:182]
	v_add_f64_e32 v[26:27], v[30:31], v[26:27]
	v_add_f64_e32 v[20:21], v[100:101], v[20:21]
	;; [unrolled: 1-line block ×4, first 2 shown]
	v_fma_f64 v[32:33], v[70:71], s[0:1], v[46:47]
	v_fma_f64 v[100:101], v[78:79], s[20:21], v[158:159]
	v_fma_f64 v[130:131], v[78:79], s[30:31], -v[177:178]
	v_fma_f64 v[78:79], v[78:79], s[18:19], -v[96:97]
	v_add_f64_e32 v[96:97], v[128:129], v[110:111]
	v_fma_f64 v[30:31], v[70:71], s[14:15], v[46:47]
	v_fma_f64 v[46:47], v[70:71], s[26:27], v[150:151]
	;; [unrolled: 1-line block ×3, first 2 shown]
	v_fma_f64 v[150:151], v[68:69], s[24:25], -v[181:182]
	v_fma_f64 v[110:111], v[66:67], s[0:1], v[108:109]
	v_add_f64_e32 v[42:43], v[205:206], v[42:43]
	v_add_f64_e32 v[54:55], v[86:87], v[54:55]
	;; [unrolled: 1-line block ×13, first 2 shown]
	v_fma_f64 v[82:83], v[66:67], s[16:17], v[132:133]
	v_fma_f64 v[92:93], v[68:69], s[20:21], -v[152:153]
	v_fma_f64 v[94:95], v[66:67], s[4:5], v[217:218]
	v_fma_f64 v[112:113], v[68:69], s[18:19], v[227:228]
	;; [unrolled: 1-line block ×3, first 2 shown]
	v_add_f64_e32 v[48:49], v[173:174], v[48:49]
	v_add_f64_e32 v[18:19], v[26:27], v[18:19]
	;; [unrolled: 1-line block ×5, first 2 shown]
	v_fma_f64 v[26:27], v[66:67], s[22:23], v[132:133]
	v_fma_f64 v[28:29], v[68:69], s[20:21], v[152:153]
	;; [unrolled: 1-line block ×3, first 2 shown]
	v_fma_f64 v[108:109], v[68:69], s[18:19], -v[227:228]
	v_fma_f64 v[68:69], v[68:69], s[12:13], -v[102:103]
	v_add_f64_e32 v[46:47], v[46:47], v[84:85]
	v_add_f64_e32 v[42:43], v[44:45], v[42:43]
	;; [unrolled: 1-line block ×38, first 2 shown]
	v_mad_u32_u24 v52, 0xc0, v62, v162
	v_add_f64_e32 v[10:11], v[100:101], v[10:11]
	v_add_f64_e32 v[48:49], v[108:109], v[84:85]
	;; [unrolled: 1-line block ×4, first 2 shown]
	ds_store_b128 v52, v[0:3] offset:160
	ds_store_b128 v52, v[4:7] offset:176
	;; [unrolled: 1-line block ×11, first 2 shown]
	ds_store_b128 v52, v[8:11]
	ds_store_b128 v52, v[44:47] offset:192
.LBB0_21:
	s_or_b32 exec_lo, exec_lo, s33
	v_and_b32_e32 v8, 0xff, v62
	v_add_nc_u32_e32 v50, 0xc3, v62
	global_wb scope:SCOPE_SE
	s_wait_dscnt 0x0
	s_barrier_signal -1
	s_barrier_wait -1
	v_mul_lo_u16 v9, 0x4f, v8
	v_and_b32_e32 v11, 0xffff, v50
	global_inv scope:SCOPE_SE
	s_mov_b32 s4, 0x134454ff
	s_mov_b32 s5, 0x3fee6f0e
	v_lshrrev_b16 v10, 10, v9
	v_mul_u32_u24_e32 v9, 0x4ec5, v11
	s_mov_b32 s1, 0xbfee6f0e
	s_wait_alu 0xfffe
	s_mov_b32 s0, s4
	s_mov_b32 s12, 0x4755a5e
	v_mul_lo_u16 v11, v10, 13
	v_lshrrev_b32_e32 v9, 18, v9
	s_mov_b32 s13, 0x3fe2cf23
	s_mov_b32 s11, 0xbfe2cf23
	s_wait_alu 0xfffe
	s_mov_b32 s10, s12
	v_sub_nc_u16 v11, v62, v11
	v_mul_lo_u16 v12, v9, 13
	s_mov_b32 s14, 0x372fe950
	s_mov_b32 s15, 0x3fd3c6ef
	v_mul_lo_u16 v8, 0xfd, v8
	v_and_b32_e32 v11, 0xff, v11
	v_sub_nc_u16 v12, v50, v12
	v_and_b32_e32 v10, 0xffff, v10
	v_mul_u32_u24_e32 v9, 0x410, v9
	s_mov_b32 s16, 0x9b97f4a8
	v_lshlrev_b32_e32 v25, 6, v11
	v_and_b32_e32 v12, 0xffff, v12
	s_mov_b32 s17, 0x3fe9e377
	s_clause 0x2
	global_load_b128 v[13:16], v25, s[8:9]
	global_load_b128 v[17:20], v25, s[8:9] offset:16
	global_load_b128 v[21:24], v25, s[8:9] offset:32
	v_lshlrev_b32_e32 v41, 6, v12
	s_clause 0x4
	global_load_b128 v[25:28], v25, s[8:9] offset:48
	global_load_b128 v[29:32], v41, s[8:9]
	global_load_b128 v[33:36], v41, s[8:9] offset:16
	global_load_b128 v[37:40], v41, s[8:9] offset:32
	;; [unrolled: 1-line block ×3, first 2 shown]
	ds_load_b128 v[45:48], v162 offset:6240
	ds_load_b128 v[51:54], v162 offset:12480
	;; [unrolled: 1-line block ×8, first 2 shown]
	s_wait_loadcnt_dscnt 0x707
	v_mul_f64_e32 v[86:87], v[47:48], v[15:16]
	s_wait_loadcnt_dscnt 0x606
	v_mul_f64_e32 v[88:89], v[53:54], v[19:20]
	;; [unrolled: 2-line block ×3, first 2 shown]
	v_mul_f64_e32 v[19:20], v[51:52], v[19:20]
	v_mul_f64_e32 v[23:24], v[55:56], v[23:24]
	;; [unrolled: 1-line block ×3, first 2 shown]
	s_wait_loadcnt_dscnt 0x404
	v_mul_f64_e32 v[92:93], v[68:69], v[27:28]
	v_mul_f64_e32 v[27:28], v[66:67], v[27:28]
	s_wait_loadcnt_dscnt 0x202
	v_mul_f64_e32 v[96:97], v[76:77], v[35:36]
	s_wait_loadcnt_dscnt 0x101
	v_mul_f64_e32 v[98:99], v[80:81], v[39:40]
	v_mul_f64_e32 v[35:36], v[74:75], v[35:36]
	;; [unrolled: 1-line block ×4, first 2 shown]
	s_wait_loadcnt_dscnt 0x0
	v_mul_f64_e32 v[100:101], v[84:85], v[43:44]
	v_mul_f64_e32 v[31:32], v[70:71], v[31:32]
	;; [unrolled: 1-line block ×3, first 2 shown]
	v_fma_f64 v[45:46], v[45:46], v[13:14], -v[86:87]
	v_fma_f64 v[51:52], v[51:52], v[17:18], -v[88:89]
	;; [unrolled: 1-line block ×3, first 2 shown]
	v_fma_f64 v[53:54], v[53:54], v[17:18], v[19:20]
	v_fma_f64 v[21:22], v[57:58], v[21:22], v[23:24]
	;; [unrolled: 1-line block ×3, first 2 shown]
	v_fma_f64 v[66:67], v[66:67], v[25:26], -v[92:93]
	v_fma_f64 v[23:24], v[68:69], v[25:26], v[27:28]
	v_fma_f64 v[27:28], v[74:75], v[33:34], -v[96:97]
	v_fma_f64 v[57:58], v[78:79], v[37:38], -v[98:99]
	v_fma_f64 v[33:34], v[76:77], v[33:34], v[35:36]
	v_fma_f64 v[37:38], v[80:81], v[37:38], v[39:40]
	v_fma_f64 v[25:26], v[70:71], v[29:30], -v[94:95]
	v_fma_f64 v[35:36], v[82:83], v[41:42], -v[100:101]
	v_fma_f64 v[29:30], v[72:73], v[29:30], v[31:32]
	v_fma_f64 v[31:32], v[84:85], v[41:42], v[43:44]
	ds_load_b128 v[13:16], v162
	ds_load_b128 v[17:20], v162 offset:3120
	global_wb scope:SCOPE_SE
	s_wait_dscnt 0x0
	s_barrier_signal -1
	s_barrier_wait -1
	global_inv scope:SCOPE_SE
	v_add_f64_e32 v[78:79], v[13:14], v[45:46]
	v_add_f64_e32 v[39:40], v[51:52], v[55:56]
	;; [unrolled: 1-line block ×6, first 2 shown]
	v_add_f64_e64 v[80:81], v[47:48], -v[23:24]
	v_add_f64_e32 v[70:71], v[27:28], v[57:58]
	v_add_f64_e64 v[90:91], v[45:46], -v[66:67]
	v_add_f64_e32 v[74:75], v[33:34], v[37:38]
	v_add_f64_e32 v[86:87], v[17:18], v[25:26]
	;; [unrolled: 1-line block ×5, first 2 shown]
	v_add_f64_e64 v[82:83], v[53:54], -v[21:22]
	v_add_f64_e64 v[92:93], v[29:30], -v[31:32]
	;; [unrolled: 1-line block ×17, first 2 shown]
	v_fma_f64 v[39:40], v[39:40], -0.5, v[13:14]
	v_fma_f64 v[43:44], v[43:44], -0.5, v[15:16]
	v_add_f64_e32 v[53:54], v[84:85], v[53:54]
	v_fma_f64 v[13:14], v[41:42], -0.5, v[13:14]
	v_add_f64_e64 v[41:42], v[51:52], -v[55:56]
	v_fma_f64 v[15:16], v[68:69], -0.5, v[15:16]
	v_fma_f64 v[70:71], v[70:71], -0.5, v[17:18]
	v_add_f64_e64 v[68:69], v[33:34], -v[37:38]
	v_fma_f64 v[74:75], v[74:75], -0.5, v[19:20]
	;; [unrolled: 3-line block ×3, first 2 shown]
	v_add_f64_e64 v[76:77], v[45:46], -v[51:52]
	v_add_f64_e64 v[45:46], v[51:52], -v[45:46]
	v_add_f64_e32 v[51:52], v[78:79], v[51:52]
	v_add_f64_e32 v[27:28], v[86:87], v[27:28]
	;; [unrolled: 1-line block ×5, first 2 shown]
	v_fma_f64 v[78:79], v[80:81], s[4:5], v[39:40]
	v_fma_f64 v[39:40], v[80:81], s[0:1], v[39:40]
	;; [unrolled: 1-line block ×16, first 2 shown]
	v_add_f64_e32 v[76:77], v[76:77], v[96:97]
	v_add_f64_e32 v[96:97], v[100:101], v[102:103]
	;; [unrolled: 1-line block ×10, first 2 shown]
	v_fma_f64 v[33:34], v[82:83], s[12:13], v[78:79]
	s_wait_alu 0xfffe
	v_fma_f64 v[37:38], v[82:83], s[10:11], v[39:40]
	v_fma_f64 v[53:54], v[41:42], s[10:11], v[86:87]
	;; [unrolled: 1-line block ×15, first 2 shown]
	v_lshrrev_b16 v13, 14, v8
	v_add_f64_e32 v[15:16], v[25:26], v[66:67]
	v_add_f64_e32 v[17:18], v[21:22], v[23:24]
	v_add_f64_e32 v[21:22], v[29:30], v[31:32]
	s_delay_alu instid0(VALU_DEP_4) | instskip(SKIP_1) | instid1(VALU_DEP_2)
	v_mul_lo_u16 v8, 0x41, v13
	v_add_f64_e32 v[19:20], v[27:28], v[35:36]
	v_sub_nc_u16 v8, v62, v8
	s_delay_alu instid0(VALU_DEP_1) | instskip(SKIP_2) | instid1(VALU_DEP_3)
	v_and_b32_e32 v14, 0xff, v8
	v_mul_u32_u24_e32 v8, 0x410, v10
	v_lshlrev_b32_e32 v10, 4, v11
	v_mul_u32_u24_e32 v11, 9, v14
	v_fma_f64 v[23:24], v[76:77], s[14:15], v[33:34]
	v_fma_f64 v[27:28], v[76:77], s[14:15], v[37:38]
	;; [unrolled: 1-line block ×16, first 2 shown]
	v_add3_u32 v8, 0, v8, v10
	v_lshlrev_b32_e32 v10, 4, v12
	v_lshlrev_b32_e32 v12, 4, v11
	s_delay_alu instid0(VALU_DEP_2)
	v_add3_u32 v9, 0, v9, v10
	ds_store_b128 v8, v[15:18]
	ds_store_b128 v8, v[23:26] offset:208
	ds_store_b128 v8, v[31:34] offset:416
	;; [unrolled: 1-line block ×4, first 2 shown]
	ds_store_b128 v9, v[19:22]
	ds_store_b128 v9, v[39:42] offset:208
	ds_store_b128 v9, v[51:54] offset:416
	;; [unrolled: 1-line block ×4, first 2 shown]
	global_wb scope:SCOPE_SE
	s_wait_dscnt 0x0
	s_barrier_signal -1
	s_barrier_wait -1
	global_inv scope:SCOPE_SE
	s_clause 0x8
	global_load_b128 v[8:11], v12, s[8:9] offset:864
	global_load_b128 v[15:18], v12, s[8:9] offset:896
	;; [unrolled: 1-line block ×9, first 2 shown]
	ds_load_b128 v[51:54], v162 offset:9360
	ds_load_b128 v[55:58], v162 offset:15600
	;; [unrolled: 1-line block ×6, first 2 shown]
	v_and_b32_e32 v12, 0xffff, v13
	v_lshlrev_b32_e32 v13, 4, v14
	s_delay_alu instid0(VALU_DEP_2) | instskip(NEXT) | instid1(VALU_DEP_1)
	v_mul_u32_u24_e32 v12, 0x28a0, v12
	v_add3_u32 v12, 0, v12, v13
	s_wait_loadcnt_dscnt 0x805
	v_mul_f64_e32 v[47:48], v[53:54], v[10:11]
	v_mul_f64_e32 v[10:11], v[51:52], v[10:11]
	s_wait_loadcnt_dscnt 0x704
	v_mul_f64_e32 v[82:83], v[57:58], v[17:18]
	v_mul_f64_e32 v[17:18], v[55:56], v[17:18]
	s_wait_loadcnt_dscnt 0x603
	v_mul_f64_e32 v[84:85], v[66:67], v[21:22]
	s_wait_loadcnt_dscnt 0x502
	v_mul_f64_e32 v[86:87], v[70:71], v[25:26]
	v_mul_f64_e32 v[25:26], v[72:73], v[25:26]
	;; [unrolled: 1-line block ×3, first 2 shown]
	s_wait_loadcnt_dscnt 0x401
	v_mul_f64_e32 v[88:89], v[76:77], v[29:30]
	v_mul_f64_e32 v[29:30], v[74:75], v[29:30]
	v_fma_f64 v[47:48], v[51:52], v[8:9], -v[47:48]
	v_fma_f64 v[51:52], v[53:54], v[8:9], v[10:11]
	v_fma_f64 v[53:54], v[55:56], v[15:16], -v[82:83]
	v_fma_f64 v[55:56], v[57:58], v[15:16], v[17:18]
	v_fma_f64 v[57:58], v[68:69], v[19:20], v[84:85]
	;; [unrolled: 1-line block ×3, first 2 shown]
	v_fma_f64 v[23:24], v[70:71], v[23:24], -v[25:26]
	v_fma_f64 v[25:26], v[66:67], v[19:20], -v[21:22]
	ds_load_b128 v[8:11], v162 offset:12480
	ds_load_b128 v[15:18], v162 offset:18720
	;; [unrolled: 1-line block ×3, first 2 shown]
	s_wait_loadcnt_dscnt 0x303
	v_mul_f64_e32 v[66:67], v[80:81], v[33:34]
	v_mul_f64_e32 v[33:34], v[78:79], v[33:34]
	v_fma_f64 v[74:75], v[74:75], v[27:28], -v[88:89]
	v_fma_f64 v[27:28], v[76:77], v[27:28], v[29:30]
	s_wait_loadcnt_dscnt 0x202
	v_mul_f64_e32 v[70:71], v[10:11], v[37:38]
	v_mul_f64_e32 v[37:38], v[8:9], v[37:38]
	s_wait_loadcnt_dscnt 0x101
	v_mul_f64_e32 v[72:73], v[17:18], v[41:42]
	s_wait_loadcnt_dscnt 0x0
	v_mul_f64_e32 v[82:83], v[21:22], v[45:46]
	v_mul_f64_e32 v[41:42], v[15:16], v[41:42]
	;; [unrolled: 1-line block ×3, first 2 shown]
	v_add_f64_e64 v[88:89], v[53:54], -v[47:48]
	v_add_f64_e64 v[92:93], v[51:52], -v[55:56]
	v_add_f64_e32 v[29:30], v[55:56], v[57:58]
	v_add_f64_e32 v[76:77], v[51:52], v[68:69]
	;; [unrolled: 1-line block ×4, first 2 shown]
	v_add_f64_e64 v[90:91], v[25:26], -v[23:24]
	v_fma_f64 v[66:67], v[78:79], v[31:32], -v[66:67]
	v_fma_f64 v[31:32], v[80:81], v[31:32], v[33:34]
	v_add_f64_e64 v[94:95], v[68:69], -v[57:58]
	v_add_f64_e64 v[96:97], v[55:56], -v[51:52]
	;; [unrolled: 1-line block ×3, first 2 shown]
	v_fma_f64 v[33:34], v[8:9], v[35:36], -v[70:71]
	v_fma_f64 v[35:36], v[10:11], v[35:36], v[37:38]
	v_fma_f64 v[15:16], v[15:16], v[39:40], -v[72:73]
	v_fma_f64 v[19:20], v[19:20], v[43:44], -v[82:83]
	v_fma_f64 v[17:18], v[17:18], v[39:40], v[41:42]
	v_add_f64_e64 v[37:38], v[51:52], -v[68:69]
	v_add_f64_e64 v[41:42], v[47:48], -v[23:24]
	v_fma_f64 v[21:22], v[21:22], v[43:44], v[45:46]
	v_add_f64_e64 v[39:40], v[55:56], -v[57:58]
	v_add_f64_e64 v[43:44], v[53:54], -v[25:26]
	ds_load_b128 v[8:11], v162
	global_wb scope:SCOPE_SE
	s_wait_dscnt 0x0
	s_barrier_signal -1
	s_barrier_wait -1
	global_inv scope:SCOPE_SE
	v_fma_f64 v[29:30], v[29:30], -0.5, v[27:28]
	v_fma_f64 v[45:46], v[76:77], -0.5, v[27:28]
	v_fma_f64 v[70:71], v[84:85], -0.5, v[74:75]
	v_fma_f64 v[72:73], v[86:87], -0.5, v[74:75]
	v_add_f64_e64 v[84:85], v[47:48], -v[53:54]
	v_add_f64_e64 v[86:87], v[23:24], -v[25:26]
	v_add_f64_e32 v[47:48], v[74:75], v[47:48]
	v_add_f64_e32 v[27:28], v[27:28], v[51:52]
	;; [unrolled: 1-line block ×7, first 2 shown]
	v_add_f64_e64 v[112:113], v[35:36], -v[17:18]
	v_add_f64_e64 v[116:117], v[66:67], -v[19:20]
	v_add_f64_e32 v[82:83], v[31:32], v[21:22]
	v_add_f64_e64 v[110:111], v[31:32], -v[21:22]
	v_add_f64_e64 v[118:119], v[33:34], -v[15:16]
	v_fma_f64 v[100:101], v[41:42], s[0:1], v[29:30]
	v_fma_f64 v[102:103], v[43:44], s[4:5], v[45:46]
	;; [unrolled: 1-line block ×8, first 2 shown]
	v_add_f64_e32 v[47:48], v[47:48], v[53:54]
	v_add_f64_e32 v[27:28], v[27:28], v[55:56]
	v_fma_f64 v[51:52], v[76:77], -0.5, v[8:9]
	v_fma_f64 v[8:9], v[78:79], -0.5, v[8:9]
	;; [unrolled: 1-line block ×3, first 2 shown]
	v_add_f64_e32 v[76:77], v[84:85], v[86:87]
	v_add_f64_e32 v[78:79], v[88:89], v[90:91]
	;; [unrolled: 1-line block ×3, first 2 shown]
	v_fma_f64 v[10:11], v[82:83], -0.5, v[10:11]
	v_add_f64_e32 v[82:83], v[96:97], v[98:99]
	v_add_f64_e64 v[92:93], v[21:22], -v[17:18]
	v_add_f64_e64 v[94:95], v[17:18], -v[21:22]
	v_fma_f64 v[84:85], v[43:44], s[10:11], v[100:101]
	v_fma_f64 v[86:87], v[41:42], s[10:11], v[102:103]
	;; [unrolled: 1-line block ×8, first 2 shown]
	v_add_f64_e64 v[43:44], v[66:67], -v[33:34]
	v_add_f64_e64 v[66:67], v[33:34], -v[66:67]
	;; [unrolled: 1-line block ×4, first 2 shown]
	v_add_f64_e32 v[33:34], v[108:109], v[33:34]
	v_add_f64_e32 v[35:36], v[114:115], v[35:36]
	v_add_f64_e64 v[45:46], v[19:20], -v[15:16]
	v_add_f64_e64 v[70:71], v[15:16], -v[19:20]
	v_add_f64_e32 v[25:26], v[47:48], v[25:26]
	v_add_f64_e32 v[27:28], v[27:28], v[57:58]
	v_fma_f64 v[53:54], v[110:111], s[4:5], v[51:52]
	v_fma_f64 v[51:52], v[110:111], s[0:1], v[51:52]
	;; [unrolled: 1-line block ×16, first 2 shown]
	v_add_f64_e32 v[31:32], v[31:32], v[94:95]
	v_add_f64_e32 v[15:16], v[33:34], v[15:16]
	;; [unrolled: 1-line block ×8, first 2 shown]
	v_fma_f64 v[33:34], v[112:113], s[12:13], v[53:54]
	v_fma_f64 v[35:36], v[112:113], s[10:11], v[51:52]
	v_fma_f64 v[47:48], v[110:111], s[12:13], v[55:56]
	v_fma_f64 v[8:9], v[110:111], s[10:11], v[8:9]
	v_fma_f64 v[51:52], v[118:119], s[10:11], v[96:97]
	v_fma_f64 v[53:54], v[118:119], s[12:13], v[74:75]
	v_fma_f64 v[55:56], v[116:117], s[10:11], v[98:99]
	v_fma_f64 v[10:11], v[116:117], s[12:13], v[10:11]
	v_mul_f64_e32 v[57:58], s[12:13], v[84:85]
	v_mul_f64_e32 v[70:71], s[4:5], v[86:87]
	;; [unrolled: 1-line block ×8, first 2 shown]
	v_add_f64_e32 v[19:20], v[15:16], v[19:20]
	v_add_f64_e32 v[21:22], v[17:18], v[21:22]
	v_fma_f64 v[68:69], v[43:44], s[14:15], v[33:34]
	v_fma_f64 v[92:93], v[43:44], s[14:15], v[35:36]
	;; [unrolled: 1-line block ×10, first 2 shown]
	v_fma_f64 v[41:42], v[41:42], s[4:5], -v[72:73]
	v_fma_f64 v[55:56], v[29:30], s[12:13], -v[74:75]
	v_fma_f64 v[57:58], v[84:85], s[16:17], v[76:77]
	v_fma_f64 v[66:67], v[86:87], s[14:15], v[78:79]
	v_fma_f64 v[70:71], v[88:89], s[0:1], -v[80:81]
	v_fma_f64 v[72:73], v[90:91], s[10:11], -v[82:83]
	v_cmp_gt_u32_e64 s0, 0x41, v62
	v_add_f64_e32 v[15:16], v[19:20], v[23:24]
	v_add_f64_e32 v[17:18], v[21:22], v[25:26]
	v_add_f64_e64 v[19:20], v[19:20], -v[23:24]
	v_add_f64_e64 v[21:22], v[21:22], -v[25:26]
	v_add_f64_e32 v[23:24], v[68:69], v[39:40]
	v_add_f64_e32 v[27:28], v[43:44], v[51:52]
	;; [unrolled: 1-line block ×8, first 2 shown]
	v_add_f64_e64 v[39:40], v[68:69], -v[39:40]
	v_add_f64_e64 v[43:44], v[43:44], -v[51:52]
	;; [unrolled: 1-line block ×8, first 2 shown]
	ds_store_b128 v12, v[15:18]
	ds_store_b128 v12, v[23:26] offset:1040
	ds_store_b128 v12, v[27:30] offset:2080
	;; [unrolled: 1-line block ×9, first 2 shown]
	global_wb scope:SCOPE_SE
	s_wait_dscnt 0x0
	s_barrier_signal -1
	s_barrier_wait -1
	global_inv scope:SCOPE_SE
	ds_load_b128 v[20:23], v162
	ds_load_b128 v[12:15], v162 offset:3120
	ds_load_b128 v[36:39], v162 offset:20800
	;; [unrolled: 1-line block ×8, first 2 shown]
	s_and_saveexec_b32 s1, s0
	s_cbranch_execz .LBB0_23
; %bb.22:
	ds_load_b128 v[8:11], v162 offset:9360
	ds_load_b128 v[0:3], v162 offset:19760
	;; [unrolled: 1-line block ×3, first 2 shown]
.LBB0_23:
	s_wait_alu 0xfffe
	s_or_b32 exec_lo, exec_lo, s1
	v_dual_mov_b32 v49, 0 :: v_dual_lshlrev_b32 v48, 1, v62
	v_lshlrev_b32_e32 v53, 1, v50
	s_mov_b32 s4, 0xe8584caa
	s_mov_b32 s5, 0x3febb67a
	;; [unrolled: 1-line block ×3, first 2 shown]
	v_mov_b32_e32 v54, v49
	v_lshlrev_b64_e32 v[51:52], 4, v[48:49]
	v_add_nc_u32_e32 v48, 0x30c, v48
	s_wait_alu 0xfffe
	s_mov_b32 s10, s4
	v_lshlrev_b64_e32 v[58:59], 4, v[53:54]
	s_delay_alu instid0(VALU_DEP_3) | instskip(SKIP_3) | instid1(VALU_DEP_4)
	v_add_co_u32 v55, s1, s8, v51
	v_lshlrev_b64_e32 v[66:67], 4, v[48:49]
	s_wait_alu 0xf1ff
	v_add_co_ci_u32_e64 v56, s1, s9, v52, s1
	v_add_co_u32 v58, s1, s8, v58
	s_wait_alu 0xf1ff
	v_add_co_ci_u32_e64 v59, s1, s9, v59, s1
	s_clause 0x1
	global_load_b128 v[50:53], v[55:56], off offset:10208
	global_load_b128 v[54:57], v[55:56], off offset:10192
	v_add_co_u32 v78, s1, s8, v66
	s_wait_alu 0xf1ff
	v_add_co_ci_u32_e64 v79, s1, s9, v67, s1
	s_clause 0x3
	global_load_b128 v[66:69], v[58:59], off offset:10192
	global_load_b128 v[70:73], v[58:59], off offset:10208
	;; [unrolled: 1-line block ×4, first 2 shown]
	global_wb scope:SCOPE_SE
	s_wait_loadcnt_dscnt 0x0
	s_barrier_signal -1
	s_barrier_wait -1
	global_inv scope:SCOPE_SE
	v_mul_f64_e32 v[82:83], v[38:39], v[52:53]
	v_mul_f64_e32 v[58:59], v[46:47], v[56:57]
	;; [unrolled: 1-line block ×12, first 2 shown]
	v_fma_f64 v[36:37], v[36:37], v[50:51], -v[82:83]
	v_fma_f64 v[44:45], v[44:45], v[54:55], -v[58:59]
	v_fma_f64 v[46:47], v[46:47], v[54:55], v[56:57]
	v_fma_f64 v[38:39], v[38:39], v[50:51], v[52:53]
	v_fma_f64 v[40:41], v[40:41], v[66:67], -v[84:85]
	v_fma_f64 v[24:25], v[24:25], v[70:71], -v[86:87]
	v_fma_f64 v[42:43], v[42:43], v[66:67], v[68:69]
	v_fma_f64 v[26:27], v[26:27], v[70:71], v[72:73]
	;; [unrolled: 4-line block ×3, first 2 shown]
	v_add_f64_e32 v[50:51], v[44:45], v[36:37]
	v_add_f64_e32 v[68:69], v[20:21], v[44:45]
	;; [unrolled: 1-line block ×3, first 2 shown]
	v_add_f64_e64 v[70:71], v[46:47], -v[38:39]
	v_add_f64_e32 v[54:55], v[40:41], v[24:25]
	v_add_f64_e32 v[46:47], v[22:23], v[46:47]
	;; [unrolled: 1-line block ×7, first 2 shown]
	v_add_f64_e64 v[44:45], v[44:45], -v[36:37]
	v_add_f64_e32 v[76:77], v[16:17], v[28:29]
	v_add_f64_e32 v[78:79], v[18:19], v[30:31]
	v_add_f64_e64 v[42:43], v[42:43], -v[26:27]
	v_add_f64_e64 v[40:41], v[40:41], -v[24:25]
	;; [unrolled: 1-line block ×4, first 2 shown]
	v_fma_f64 v[50:51], v[50:51], -0.5, v[20:21]
	v_fma_f64 v[52:53], v[52:53], -0.5, v[22:23]
	;; [unrolled: 1-line block ×3, first 2 shown]
	v_add_f64_e32 v[12:13], v[68:69], v[36:37]
	v_fma_f64 v[56:57], v[56:57], -0.5, v[14:15]
	v_add_f64_e32 v[14:15], v[46:47], v[38:39]
	v_fma_f64 v[58:59], v[58:59], -0.5, v[16:17]
	;; [unrolled: 2-line block ×3, first 2 shown]
	v_add_f64_e32 v[18:19], v[74:75], v[26:27]
	v_add_f64_e32 v[20:21], v[76:77], v[32:33]
	;; [unrolled: 1-line block ×3, first 2 shown]
	v_fma_f64 v[24:25], v[70:71], s[4:5], v[50:51]
	s_wait_alu 0xfffe
	v_fma_f64 v[28:29], v[70:71], s[10:11], v[50:51]
	v_fma_f64 v[26:27], v[44:45], s[10:11], v[52:53]
	;; [unrolled: 1-line block ×11, first 2 shown]
	ds_store_b128 v162, v[12:15]
	ds_store_b128 v162, v[16:19] offset:3120
	ds_store_b128 v162, v[24:27] offset:10400
	;; [unrolled: 1-line block ×8, first 2 shown]
	s_and_saveexec_b32 s1, s0
	s_cbranch_execz .LBB0_25
; %bb.24:
	v_mov_b32_e32 v12, 0x249
	s_delay_alu instid0(VALU_DEP_1) | instskip(NEXT) | instid1(VALU_DEP_1)
	v_cndmask_b32_e64 v12, 0xffffffbf, v12, s0
	v_add_lshl_u32 v48, v62, v12, 1
	s_delay_alu instid0(VALU_DEP_1) | instskip(NEXT) | instid1(VALU_DEP_1)
	v_lshlrev_b64_e32 v[12:13], 4, v[48:49]
	v_add_co_u32 v16, s0, s8, v12
	s_wait_alu 0xf1ff
	s_delay_alu instid0(VALU_DEP_2)
	v_add_co_ci_u32_e64 v17, s0, s9, v13, s0
	s_clause 0x1
	global_load_b128 v[12:15], v[16:17], off offset:10192
	global_load_b128 v[16:19], v[16:17], off offset:10208
	s_wait_loadcnt 0x1
	v_mul_f64_e32 v[20:21], v[0:1], v[14:15]
	s_wait_loadcnt 0x0
	v_mul_f64_e32 v[22:23], v[4:5], v[18:19]
	v_mul_f64_e32 v[14:15], v[2:3], v[14:15]
	;; [unrolled: 1-line block ×3, first 2 shown]
	s_delay_alu instid0(VALU_DEP_4) | instskip(NEXT) | instid1(VALU_DEP_4)
	v_fma_f64 v[2:3], v[2:3], v[12:13], v[20:21]
	v_fma_f64 v[6:7], v[6:7], v[16:17], v[22:23]
	s_delay_alu instid0(VALU_DEP_4) | instskip(NEXT) | instid1(VALU_DEP_4)
	v_fma_f64 v[0:1], v[0:1], v[12:13], -v[14:15]
	v_fma_f64 v[4:5], v[4:5], v[16:17], -v[18:19]
	s_delay_alu instid0(VALU_DEP_4) | instskip(NEXT) | instid1(VALU_DEP_4)
	v_add_f64_e32 v[18:19], v[10:11], v[2:3]
	v_add_f64_e32 v[12:13], v[2:3], v[6:7]
	s_delay_alu instid0(VALU_DEP_3) | instskip(SKIP_2) | instid1(VALU_DEP_4)
	v_add_f64_e32 v[14:15], v[0:1], v[4:5]
	v_add_f64_e64 v[16:17], v[0:1], -v[4:5]
	v_add_f64_e32 v[0:1], v[8:9], v[0:1]
	v_fma_f64 v[10:11], v[12:13], -0.5, v[10:11]
	v_add_f64_e64 v[12:13], v[2:3], -v[6:7]
	v_fma_f64 v[14:15], v[14:15], -0.5, v[8:9]
	v_add_f64_e32 v[2:3], v[18:19], v[6:7]
	v_add_f64_e32 v[0:1], v[0:1], v[4:5]
	v_fma_f64 v[6:7], v[16:17], s[4:5], v[10:11]
	v_fma_f64 v[10:11], v[16:17], s[10:11], v[10:11]
	;; [unrolled: 1-line block ×4, first 2 shown]
	ds_store_b128 v162, v[0:3] offset:9360
	ds_store_b128 v162, v[8:11] offset:19760
	;; [unrolled: 1-line block ×3, first 2 shown]
.LBB0_25:
	s_wait_alu 0xfffe
	s_or_b32 exec_lo, exec_lo, s1
	global_wb scope:SCOPE_SE
	s_wait_dscnt 0x0
	s_barrier_signal -1
	s_barrier_wait -1
	global_inv scope:SCOPE_SE
	s_and_saveexec_b32 s0, vcc_lo
	s_cbranch_execz .LBB0_27
; %bb.26:
	v_mul_lo_u32 v2, s3, v64
	v_mul_lo_u32 v3, s2, v65
	v_mad_co_u64_u32 v[0:1], null, s2, v64, 0
	v_dual_mov_b32 v63, 0 :: v_dual_add_nc_u32 v10, 0xc3, v62
	v_lshlrev_b64_e32 v[8:9], 4, v[60:61]
	v_lshl_add_u32 v34, v62, 4, 0
	s_delay_alu instid0(VALU_DEP_3) | instskip(SKIP_4) | instid1(VALU_DEP_4)
	v_dual_mov_b32 v11, v63 :: v_dual_add_nc_u32 v12, 0x186, v62
	v_add3_u32 v1, v1, v3, v2
	v_lshlrev_b64_e32 v[14:15], 4, v[62:63]
	v_dual_mov_b32 v13, v63 :: v_dual_add_nc_u32 v22, 0x249, v62
	v_dual_mov_b32 v23, v63 :: v_dual_add_nc_u32 v24, 0x30c, v62
	v_lshlrev_b64_e32 v[16:17], 4, v[0:1]
	ds_load_b128 v[0:3], v34
	ds_load_b128 v[4:7], v34 offset:3120
	v_mov_b32_e32 v25, v63
	v_lshlrev_b64_e32 v[22:23], 4, v[22:23]
	v_add_co_u32 v18, vcc_lo, s6, v16
	s_wait_alu 0xfffd
	v_add_co_ci_u32_e32 v19, vcc_lo, s7, v17, vcc_lo
	v_lshlrev_b64_e32 v[16:17], 4, v[10:11]
	s_delay_alu instid0(VALU_DEP_3) | instskip(SKIP_1) | instid1(VALU_DEP_3)
	v_add_co_u32 v36, vcc_lo, v18, v8
	s_wait_alu 0xfffd
	v_add_co_ci_u32_e32 v37, vcc_lo, v19, v9, vcc_lo
	v_lshlrev_b64_e32 v[18:19], 4, v[12:13]
	s_delay_alu instid0(VALU_DEP_3) | instskip(SKIP_1) | instid1(VALU_DEP_3)
	v_add_co_u32 v20, vcc_lo, v36, v14
	s_wait_alu 0xfffd
	v_add_co_ci_u32_e32 v21, vcc_lo, v37, v15, vcc_lo
	ds_load_b128 v[8:11], v34 offset:6240
	ds_load_b128 v[12:15], v34 offset:9360
	v_add_co_u32 v16, vcc_lo, v36, v16
	s_wait_alu 0xfffd
	v_add_co_ci_u32_e32 v17, vcc_lo, v37, v17, vcc_lo
	v_add_co_u32 v18, vcc_lo, v36, v18
	s_wait_alu 0xfffd
	v_add_co_ci_u32_e32 v19, vcc_lo, v37, v19, vcc_lo
	v_add_co_u32 v22, vcc_lo, v36, v22
	s_wait_dscnt 0x3
	global_store_b128 v[20:21], v[0:3], off
	s_wait_dscnt 0x2
	global_store_b128 v[16:17], v[4:7], off
	v_dual_mov_b32 v3, v63 :: v_dual_add_nc_u32 v2, 0x3cf, v62
	s_wait_alu 0xfffd
	v_add_co_ci_u32_e32 v23, vcc_lo, v37, v23, vcc_lo
	v_lshlrev_b64_e32 v[0:1], 4, v[24:25]
	s_wait_dscnt 0x1
	global_store_b128 v[18:19], v[8:11], off
	s_wait_dscnt 0x0
	global_store_b128 v[22:23], v[12:15], off
	v_add_nc_u32_e32 v10, 0x492, v62
	v_lshlrev_b64_e32 v[8:9], 4, v[2:3]
	v_add_co_u32 v24, vcc_lo, v36, v0
	v_dual_mov_b32 v11, v63 :: v_dual_add_nc_u32 v16, 0x555, v62
	s_wait_alu 0xfffd
	v_add_co_ci_u32_e32 v25, vcc_lo, v37, v1, vcc_lo
	s_delay_alu instid0(VALU_DEP_4)
	v_add_co_u32 v26, vcc_lo, v36, v8
	s_wait_alu 0xfffd
	v_add_co_ci_u32_e32 v27, vcc_lo, v37, v9, vcc_lo
	v_lshlrev_b64_e32 v[8:9], 4, v[10:11]
	v_dual_mov_b32 v17, v63 :: v_dual_add_nc_u32 v18, 0x618, v62
	v_dual_mov_b32 v19, v63 :: v_dual_add_nc_u32 v62, 0x6db, v62
	ds_load_b128 v[0:3], v34 offset:12480
	ds_load_b128 v[4:7], v34 offset:15600
	v_add_co_u32 v28, vcc_lo, v36, v8
	s_wait_alu 0xfffd
	v_add_co_ci_u32_e32 v29, vcc_lo, v37, v9, vcc_lo
	ds_load_b128 v[8:11], v34 offset:18720
	ds_load_b128 v[12:15], v34 offset:21840
	v_lshlrev_b64_e32 v[30:31], 4, v[16:17]
	v_lshlrev_b64_e32 v[32:33], 4, v[18:19]
	ds_load_b128 v[16:19], v34 offset:24960
	ds_load_b128 v[20:23], v34 offset:28080
	v_lshlrev_b64_e32 v[34:35], 4, v[62:63]
	v_add_co_u32 v30, vcc_lo, v36, v30
	s_wait_alu 0xfffd
	v_add_co_ci_u32_e32 v31, vcc_lo, v37, v31, vcc_lo
	v_add_co_u32 v32, vcc_lo, v36, v32
	s_wait_alu 0xfffd
	v_add_co_ci_u32_e32 v33, vcc_lo, v37, v33, vcc_lo
	;; [unrolled: 3-line block ×3, first 2 shown]
	s_wait_dscnt 0x5
	global_store_b128 v[24:25], v[0:3], off
	s_wait_dscnt 0x4
	global_store_b128 v[26:27], v[4:7], off
	;; [unrolled: 2-line block ×6, first 2 shown]
.LBB0_27:
	s_nop 0
	s_sendmsg sendmsg(MSG_DEALLOC_VGPRS)
	s_endpgm
	.section	.rodata,"a",@progbits
	.p2align	6, 0x0
	.amdhsa_kernel fft_rtc_fwd_len1950_factors_13_5_10_3_wgs_195_tpt_195_dp_op_CI_CI_unitstride_sbrr_C2R_dirReg
		.amdhsa_group_segment_fixed_size 0
		.amdhsa_private_segment_fixed_size 0
		.amdhsa_kernarg_size 104
		.amdhsa_user_sgpr_count 2
		.amdhsa_user_sgpr_dispatch_ptr 0
		.amdhsa_user_sgpr_queue_ptr 0
		.amdhsa_user_sgpr_kernarg_segment_ptr 1
		.amdhsa_user_sgpr_dispatch_id 0
		.amdhsa_user_sgpr_private_segment_size 0
		.amdhsa_wavefront_size32 1
		.amdhsa_uses_dynamic_stack 0
		.amdhsa_enable_private_segment 0
		.amdhsa_system_sgpr_workgroup_id_x 1
		.amdhsa_system_sgpr_workgroup_id_y 0
		.amdhsa_system_sgpr_workgroup_id_z 0
		.amdhsa_system_sgpr_workgroup_info 0
		.amdhsa_system_vgpr_workitem_id 0
		.amdhsa_next_free_vgpr 239
		.amdhsa_next_free_sgpr 44
		.amdhsa_reserve_vcc 1
		.amdhsa_float_round_mode_32 0
		.amdhsa_float_round_mode_16_64 0
		.amdhsa_float_denorm_mode_32 3
		.amdhsa_float_denorm_mode_16_64 3
		.amdhsa_fp16_overflow 0
		.amdhsa_workgroup_processor_mode 1
		.amdhsa_memory_ordered 1
		.amdhsa_forward_progress 0
		.amdhsa_round_robin_scheduling 0
		.amdhsa_exception_fp_ieee_invalid_op 0
		.amdhsa_exception_fp_denorm_src 0
		.amdhsa_exception_fp_ieee_div_zero 0
		.amdhsa_exception_fp_ieee_overflow 0
		.amdhsa_exception_fp_ieee_underflow 0
		.amdhsa_exception_fp_ieee_inexact 0
		.amdhsa_exception_int_div_zero 0
	.end_amdhsa_kernel
	.text
.Lfunc_end0:
	.size	fft_rtc_fwd_len1950_factors_13_5_10_3_wgs_195_tpt_195_dp_op_CI_CI_unitstride_sbrr_C2R_dirReg, .Lfunc_end0-fft_rtc_fwd_len1950_factors_13_5_10_3_wgs_195_tpt_195_dp_op_CI_CI_unitstride_sbrr_C2R_dirReg
                                        ; -- End function
	.section	.AMDGPU.csdata,"",@progbits
; Kernel info:
; codeLenInByte = 10916
; NumSgprs: 46
; NumVgprs: 239
; ScratchSize: 0
; MemoryBound: 0
; FloatMode: 240
; IeeeMode: 1
; LDSByteSize: 0 bytes/workgroup (compile time only)
; SGPRBlocks: 5
; VGPRBlocks: 29
; NumSGPRsForWavesPerEU: 46
; NumVGPRsForWavesPerEU: 239
; Occupancy: 6
; WaveLimiterHint : 1
; COMPUTE_PGM_RSRC2:SCRATCH_EN: 0
; COMPUTE_PGM_RSRC2:USER_SGPR: 2
; COMPUTE_PGM_RSRC2:TRAP_HANDLER: 0
; COMPUTE_PGM_RSRC2:TGID_X_EN: 1
; COMPUTE_PGM_RSRC2:TGID_Y_EN: 0
; COMPUTE_PGM_RSRC2:TGID_Z_EN: 0
; COMPUTE_PGM_RSRC2:TIDIG_COMP_CNT: 0
	.text
	.p2alignl 7, 3214868480
	.fill 96, 4, 3214868480
	.type	__hip_cuid_8279b576de973fb0,@object ; @__hip_cuid_8279b576de973fb0
	.section	.bss,"aw",@nobits
	.globl	__hip_cuid_8279b576de973fb0
__hip_cuid_8279b576de973fb0:
	.byte	0                               ; 0x0
	.size	__hip_cuid_8279b576de973fb0, 1

	.ident	"AMD clang version 19.0.0git (https://github.com/RadeonOpenCompute/llvm-project roc-6.4.0 25133 c7fe45cf4b819c5991fe208aaa96edf142730f1d)"
	.section	".note.GNU-stack","",@progbits
	.addrsig
	.addrsig_sym __hip_cuid_8279b576de973fb0
	.amdgpu_metadata
---
amdhsa.kernels:
  - .args:
      - .actual_access:  read_only
        .address_space:  global
        .offset:         0
        .size:           8
        .value_kind:     global_buffer
      - .offset:         8
        .size:           8
        .value_kind:     by_value
      - .actual_access:  read_only
        .address_space:  global
        .offset:         16
        .size:           8
        .value_kind:     global_buffer
      - .actual_access:  read_only
        .address_space:  global
        .offset:         24
        .size:           8
        .value_kind:     global_buffer
      - .actual_access:  read_only
        .address_space:  global
        .offset:         32
        .size:           8
        .value_kind:     global_buffer
      - .offset:         40
        .size:           8
        .value_kind:     by_value
      - .actual_access:  read_only
        .address_space:  global
        .offset:         48
        .size:           8
        .value_kind:     global_buffer
      - .actual_access:  read_only
        .address_space:  global
        .offset:         56
        .size:           8
        .value_kind:     global_buffer
      - .offset:         64
        .size:           4
        .value_kind:     by_value
      - .actual_access:  read_only
        .address_space:  global
        .offset:         72
        .size:           8
        .value_kind:     global_buffer
      - .actual_access:  read_only
        .address_space:  global
        .offset:         80
        .size:           8
        .value_kind:     global_buffer
      - .actual_access:  read_only
        .address_space:  global
        .offset:         88
        .size:           8
        .value_kind:     global_buffer
      - .actual_access:  write_only
        .address_space:  global
        .offset:         96
        .size:           8
        .value_kind:     global_buffer
    .group_segment_fixed_size: 0
    .kernarg_segment_align: 8
    .kernarg_segment_size: 104
    .language:       OpenCL C
    .language_version:
      - 2
      - 0
    .max_flat_workgroup_size: 195
    .name:           fft_rtc_fwd_len1950_factors_13_5_10_3_wgs_195_tpt_195_dp_op_CI_CI_unitstride_sbrr_C2R_dirReg
    .private_segment_fixed_size: 0
    .sgpr_count:     46
    .sgpr_spill_count: 0
    .symbol:         fft_rtc_fwd_len1950_factors_13_5_10_3_wgs_195_tpt_195_dp_op_CI_CI_unitstride_sbrr_C2R_dirReg.kd
    .uniform_work_group_size: 1
    .uses_dynamic_stack: false
    .vgpr_count:     239
    .vgpr_spill_count: 0
    .wavefront_size: 32
    .workgroup_processor_mode: 1
amdhsa.target:   amdgcn-amd-amdhsa--gfx1201
amdhsa.version:
  - 1
  - 2
...

	.end_amdgpu_metadata
